;; amdgpu-corpus repo=ROCm/rocFFT kind=compiled arch=gfx906 opt=O3
	.text
	.amdgcn_target "amdgcn-amd-amdhsa--gfx906"
	.amdhsa_code_object_version 6
	.protected	bluestein_single_fwd_len1485_dim1_dp_op_CI_CI ; -- Begin function bluestein_single_fwd_len1485_dim1_dp_op_CI_CI
	.globl	bluestein_single_fwd_len1485_dim1_dp_op_CI_CI
	.p2align	8
	.type	bluestein_single_fwd_len1485_dim1_dp_op_CI_CI,@function
bluestein_single_fwd_len1485_dim1_dp_op_CI_CI: ; @bluestein_single_fwd_len1485_dim1_dp_op_CI_CI
; %bb.0:
	s_load_dwordx4 s[16:19], s[4:5], 0x28
	s_mov_b64 s[50:51], s[2:3]
	v_mul_u32_u24_e32 v1, 0x18e, v0
	s_mov_b64 s[48:49], s[0:1]
	v_add_u32_sdwa v4, s6, v1 dst_sel:DWORD dst_unused:UNUSED_PAD src0_sel:DWORD src1_sel:WORD_1
	v_mov_b32_e32 v5, 0
	s_add_u32 s48, s48, s7
	s_waitcnt lgkmcnt(0)
	v_cmp_gt_u64_e32 vcc, s[16:17], v[4:5]
	s_addc_u32 s49, s49, 0
	s_and_saveexec_b64 s[0:1], vcc
	s_cbranch_execz .LBB0_18
; %bb.1:
	s_load_dwordx4 s[0:3], s[4:5], 0x18
	s_load_dwordx4 s[12:15], s[4:5], 0x0
	v_mov_b32_e32 v5, v4
	v_mov_b32_e32 v16, 0xffffcc70
	s_load_dwordx2 s[4:5], s[4:5], 0x38
                                        ; implicit-def: $vgpr104_vgpr105
	s_waitcnt lgkmcnt(0)
	s_load_dwordx4 s[8:11], s[0:1], 0x0
	s_movk_i32 s0, 0xa5
	v_mul_lo_u16_sdwa v1, v1, s0 dst_sel:DWORD dst_unused:UNUSED_PAD src0_sel:WORD_1 src1_sel:DWORD
	v_sub_u16_e32 v192, v0, v1
	buffer_store_dword v5, off, s[48:51], 0 ; 4-byte Folded Spill
	s_nop 0
	buffer_store_dword v6, off, s[48:51], 0 offset:4 ; 4-byte Folded Spill
	s_waitcnt lgkmcnt(0)
	v_mad_u64_u32 v[0:1], s[6:7], s10, v4, 0
	v_mad_u64_u32 v[2:3], s[6:7], s8, v192, 0
	v_lshlrev_b32_e32 v255, 4, v192
	s_mul_i32 s1, s9, 0x1ef0
	v_mad_u64_u32 v[4:5], s[6:7], s11, v4, v[1:2]
	v_mad_u64_u32 v[5:6], s[6:7], s9, v192, v[3:4]
	v_mov_b32_e32 v1, v4
	v_lshlrev_b64 v[0:1], 4, v[0:1]
	v_mov_b32_e32 v6, s19
	v_mov_b32_e32 v3, v5
	v_add_co_u32_e32 v4, vcc, s18, v0
	v_addc_co_u32_e32 v5, vcc, v6, v1, vcc
	v_lshlrev_b64 v[0:1], 4, v[2:3]
	v_mov_b32_e32 v2, s13
	v_add_co_u32_e32 v0, vcc, v4, v0
	v_addc_co_u32_e32 v1, vcc, v5, v1, vcc
	v_add_co_u32_e32 v72, vcc, s12, v255
	s_mul_hi_u32 s6, s8, 0x1ef0
	v_addc_co_u32_e32 v73, vcc, 0, v2, vcc
	s_add_i32 s1, s6, s1
	s_mul_i32 s6, s8, 0x1ef0
	v_mov_b32_e32 v3, s1
	v_add_co_u32_e32 v2, vcc, s6, v0
	v_addc_co_u32_e32 v3, vcc, v1, v3, vcc
	s_movk_i32 s7, 0x1000
	v_add_co_u32_e32 v12, vcc, s7, v72
	v_addc_co_u32_e32 v13, vcc, 0, v73, vcc
	global_load_dwordx4 v[36:39], v[0:1], off
	global_load_dwordx4 v[40:43], v[2:3], off
	v_mov_b32_e32 v1, s1
	v_add_co_u32_e32 v0, vcc, s6, v2
	v_addc_co_u32_e32 v1, vcc, v3, v1, vcc
	v_mad_u64_u32 v[8:9], s[10:11], s8, v16, v[0:1]
	s_movk_i32 s7, 0x3000
	v_add_co_u32_e32 v24, vcc, s7, v72
	s_mul_i32 s7, s9, 0xffffcc70
	s_sub_i32 s7, s7, s8
	v_addc_co_u32_e32 v25, vcc, 0, v73, vcc
	v_add_u32_e32 v9, s7, v9
	global_load_dwordx4 v[44:47], v[0:1], off
	v_mov_b32_e32 v10, s1
	global_load_dwordx4 v[0:3], v[24:25], off offset:3552
	global_load_dwordx4 v[48:51], v[8:9], off
	global_load_dwordx4 v[28:31], v255, s[12:13]
	global_load_dwordx4 v[4:7], v255, s[12:13] offset:2640
	v_add_co_u32_e32 v14, vcc, s6, v8
	v_addc_co_u32_e32 v15, vcc, v9, v10, vcc
	s_movk_i32 s9, 0x2000
	v_add_co_u32_e32 v8, vcc, s9, v72
	v_addc_co_u32_e32 v9, vcc, 0, v73, vcc
	global_load_dwordx4 v[52:55], v[14:15], off
	v_mov_b32_e32 v17, s1
	v_add_co_u32_e32 v14, vcc, s6, v14
	v_addc_co_u32_e32 v15, vcc, v15, v17, vcc
	s_movk_i32 s10, 0x4000
	global_load_dwordx4 v[56:59], v[14:15], off
	v_mad_u64_u32 v[14:15], s[8:9], s8, v16, v[14:15]
	v_add_co_u32_e32 v16, vcc, s10, v72
	v_addc_co_u32_e32 v17, vcc, 0, v73, vcc
	global_load_dwordx4 v[8:11], v[8:9], off offset:2368
	s_nop 0
	global_load_dwordx4 v[20:23], v[16:17], off offset:2096
	global_load_dwordx4 v[32:35], v[12:13], off offset:3824
	v_add_u32_e32 v15, s7, v15
	global_load_dwordx4 v[60:63], v[14:15], off
	global_load_dwordx4 v[16:19], v[12:13], off offset:1184
	v_mov_b32_e32 v12, s1
	v_add_co_u32_e32 v26, vcc, s6, v14
	v_addc_co_u32_e32 v27, vcc, v15, v12, vcc
	global_load_dwordx4 v[64:67], v[26:27], off
	global_load_dwordx4 v[12:15], v[24:25], off offset:912
	v_mov_b32_e32 v25, s1
	v_add_co_u32_e32 v24, vcc, s6, v26
	v_addc_co_u32_e32 v25, vcc, v27, v25, vcc
	s_movk_i32 s1, 0x5000
	global_load_dwordx4 v[68:71], v[24:25], off
	v_add_co_u32_e32 v24, vcc, s1, v72
	v_addc_co_u32_e32 v25, vcc, 0, v73, vcc
	global_load_dwordx4 v[24:27], v[24:25], off offset:640
	s_load_dwordx4 s[8:11], s[2:3], 0x0
	v_add_co_u32_e32 v186, vcc, s0, v192
	s_movk_i32 s0, 0x14a
	v_add_co_u32_e32 v194, vcc, s0, v192
	s_mov_b32 s0, 0xe8584caa
	s_mov_b32 s1, 0x3febb67a
	;; [unrolled: 1-line block ×4, first 2 shown]
	s_waitcnt vmcnt(12)
	v_mul_f64 v[72:73], v[38:39], v[30:31]
	v_mul_f64 v[74:75], v[36:37], v[30:31]
	s_waitcnt vmcnt(11)
	v_mul_f64 v[76:77], v[50:51], v[6:7]
	v_mul_f64 v[78:79], v[48:49], v[6:7]
	v_fma_f64 v[36:37], v[36:37], v[28:29], v[72:73]
	v_fma_f64 v[38:39], v[38:39], v[28:29], -v[74:75]
	v_mul_f64 v[72:73], v[46:47], v[2:3]
	v_mul_f64 v[74:75], v[44:45], v[2:3]
	ds_write_b128 v255, v[36:39]
	s_waitcnt vmcnt(8)
	v_mul_f64 v[80:81], v[54:55], v[10:11]
	s_waitcnt vmcnt(6)
	v_mul_f64 v[36:37], v[42:43], v[34:35]
	v_mul_f64 v[38:39], v[40:41], v[34:35]
	;; [unrolled: 1-line block ×3, first 2 shown]
	v_fma_f64 v[36:37], v[40:41], v[32:33], v[36:37]
	v_fma_f64 v[38:39], v[42:43], v[32:33], -v[38:39]
	v_fma_f64 v[40:41], v[44:45], v[0:1], v[72:73]
	v_fma_f64 v[42:43], v[46:47], v[0:1], -v[74:75]
	v_fma_f64 v[44:45], v[48:49], v[4:5], v[76:77]
	v_fma_f64 v[46:47], v[50:51], v[4:5], -v[78:79]
	v_fma_f64 v[48:49], v[52:53], v[8:9], v[80:81]
	v_fma_f64 v[50:51], v[54:55], v[8:9], -v[82:83]
	v_mul_f64 v[52:53], v[58:59], v[22:23]
	v_mul_f64 v[54:55], v[56:57], v[22:23]
	s_waitcnt vmcnt(4)
	v_mul_f64 v[72:73], v[62:63], v[18:19]
	v_mul_f64 v[74:75], v[60:61], v[18:19]
	s_waitcnt vmcnt(2)
	;; [unrolled: 3-line block ×3, first 2 shown]
	v_mul_f64 v[80:81], v[70:71], v[26:27]
	v_mul_f64 v[82:83], v[68:69], v[26:27]
	v_fma_f64 v[52:53], v[56:57], v[20:21], v[52:53]
	v_fma_f64 v[54:55], v[58:59], v[20:21], -v[54:55]
	v_fma_f64 v[56:57], v[60:61], v[16:17], v[72:73]
	v_fma_f64 v[58:59], v[62:63], v[16:17], -v[74:75]
	;; [unrolled: 2-line block ×4, first 2 shown]
	ds_write_b128 v255, v[36:39] offset:7920
	ds_write_b128 v255, v[40:43] offset:15840
	;; [unrolled: 1-line block ×8, first 2 shown]
	s_waitcnt lgkmcnt(0)
	s_barrier
	ds_read_b128 v[36:39], v255 offset:7920
	ds_read_b128 v[40:43], v255 offset:15840
	;; [unrolled: 1-line block ×4, first 2 shown]
	ds_read_b128 v[52:55], v255
	ds_read_b128 v[56:59], v255 offset:2640
	s_waitcnt lgkmcnt(4)
	v_add_f64 v[60:61], v[36:37], v[40:41]
	v_add_f64 v[78:79], v[38:39], v[42:43]
	s_waitcnt lgkmcnt(1)
	v_add_f64 v[72:73], v[52:53], v[36:37]
	v_add_f64 v[76:77], v[38:39], -v[42:43]
	v_add_f64 v[38:39], v[54:55], v[38:39]
	v_fma_f64 v[74:75], v[60:61], -0.5, v[52:53]
	v_fma_f64 v[78:79], v[78:79], -0.5, v[54:55]
	v_add_f64 v[52:53], v[72:73], v[40:41]
	v_add_f64 v[40:41], v[36:37], -v[40:41]
	ds_read_b128 v[60:63], v255 offset:10560
	ds_read_b128 v[64:67], v255 offset:13200
	;; [unrolled: 1-line block ×3, first 2 shown]
	v_add_f64 v[54:55], v[38:39], v[42:43]
	s_waitcnt lgkmcnt(0)
	v_add_f64 v[80:81], v[60:61], v[44:45]
	v_add_f64 v[82:83], v[56:57], v[60:61]
	;; [unrolled: 1-line block ×3, first 2 shown]
	v_fma_f64 v[72:73], v[76:77], s[0:1], v[74:75]
	v_fma_f64 v[36:37], v[76:77], s[2:3], v[74:75]
	;; [unrolled: 1-line block ×4, first 2 shown]
	v_add_f64 v[76:77], v[64:65], v[68:69]
	v_add_f64 v[78:79], v[66:67], v[70:71]
	v_fma_f64 v[80:81], v[80:81], -0.5, v[56:57]
	v_add_f64 v[84:85], v[62:63], -v[46:47]
	v_add_f64 v[56:57], v[82:83], v[44:45]
	v_add_f64 v[62:63], v[58:59], v[62:63]
	v_fma_f64 v[42:43], v[42:43], -0.5, v[58:59]
	v_add_f64 v[44:45], v[60:61], -v[44:45]
	v_add_f64 v[60:61], v[48:49], v[64:65]
	v_fma_f64 v[48:49], v[76:77], -0.5, v[48:49]
	v_add_f64 v[82:83], v[66:67], -v[70:71]
	;; [unrolled: 3-line block ×3, first 2 shown]
	v_fma_f64 v[40:41], v[84:85], s[2:3], v[80:81]
	v_add_f64 v[58:59], v[62:63], v[46:47]
	v_fma_f64 v[90:91], v[44:45], s[2:3], v[42:43]
	v_fma_f64 v[42:43], v[44:45], s[0:1], v[42:43]
	;; [unrolled: 1-line block ×3, first 2 shown]
	v_add_f64 v[76:77], v[60:61], v[68:69]
	v_fma_f64 v[84:85], v[82:83], s[2:3], v[48:49]
	v_add_f64 v[78:79], v[66:67], v[70:71]
	v_fma_f64 v[86:87], v[64:65], s[0:1], v[50:51]
	v_fma_f64 v[80:81], v[82:83], s[0:1], v[48:49]
	;; [unrolled: 1-line block ×3, first 2 shown]
	v_mul_lo_u16_e32 v44, 3, v192
	v_lshlrev_b32_e32 v44, 4, v44
	s_barrier
	ds_write_b128 v44, v[52:55]
	ds_write_b128 v44, v[72:75] offset:16
	ds_write_b128 v44, v[36:39] offset:32
	v_mul_u32_u24_e32 v36, 3, v186
	v_lshlrev_b32_e32 v36, 4, v36
	buffer_store_dword v44, off, s[48:51], 0 offset:16 ; 4-byte Folded Spill
	ds_write_b128 v36, v[56:59]
	ds_write_b128 v36, v[88:91] offset:16
	buffer_store_dword v36, off, s[48:51], 0 offset:20 ; 4-byte Folded Spill
	ds_write_b128 v36, v[40:43] offset:32
	v_mul_u32_u24_e32 v36, 3, v194
	v_lshlrev_b32_e32 v36, 4, v36
	ds_write_b128 v36, v[76:79]
	ds_write_b128 v36, v[80:83] offset:16
	buffer_store_dword v36, off, s[48:51], 0 offset:24 ; 4-byte Folded Spill
	ds_write_b128 v36, v[84:87] offset:32
	s_waitcnt vmcnt(0) lgkmcnt(0)
	s_barrier
	ds_read_b128 v[60:63], v255
	ds_read_b128 v[100:103], v255 offset:4752
	ds_read_b128 v[96:99], v255 offset:9504
	;; [unrolled: 1-line block ×4, first 2 shown]
	s_movk_i32 s0, 0x84
	v_cmp_gt_u16_e32 vcc, s0, v192
	s_and_saveexec_b64 s[0:1], vcc
	s_cbranch_execz .LBB0_3
; %bb.2:
	ds_read_b128 v[40:43], v255 offset:2640
	ds_read_b128 v[76:79], v255 offset:7392
	;; [unrolled: 1-line block ×5, first 2 shown]
.LBB0_3:
	s_or_b64 exec, exec, s[0:1]
	s_movk_i32 s0, 0xab
	v_mul_lo_u16_sdwa v36, v192, s0 dst_sel:DWORD dst_unused:UNUSED_PAD src0_sel:BYTE_0 src1_sel:DWORD
	v_lshrrev_b16_e32 v158, 9, v36
	v_mul_lo_u16_e32 v36, 3, v158
	v_sub_u16_e32 v36, v192, v36
	v_and_b32_e32 v159, 0xff, v36
	v_lshlrev_b32_e32 v44, 6, v159
	s_mov_b32 s0, 0xaaab
	global_load_dwordx4 v[36:39], v44, s[14:15] offset:48
	global_load_dwordx4 v[48:51], v44, s[14:15] offset:32
	;; [unrolled: 1-line block ×3, first 2 shown]
	global_load_dwordx4 v[56:59], v44, s[14:15]
	v_mul_u32_u24_sdwa v44, v186, s0 dst_sel:DWORD dst_unused:UNUSED_PAD src0_sel:WORD_0 src1_sel:DWORD
	v_lshrrev_b32_e32 v160, 17, v44
	v_mul_lo_u16_e32 v44, 3, v160
	v_sub_u16_e32 v161, v186, v44
	v_lshlrev_b16_e32 v44, 2, v161
	v_lshlrev_b32_e32 v108, 4, v44
	global_load_dwordx4 v[72:75], v108, s[14:15]
	global_load_dwordx4 v[68:71], v108, s[14:15] offset:16
	global_load_dwordx4 v[64:67], v108, s[14:15] offset:32
	;; [unrolled: 1-line block ×3, first 2 shown]
	s_mov_b32 s6, 0x134454ff
	s_mov_b32 s7, 0x3fee6f0e
	;; [unrolled: 1-line block ×10, first 2 shown]
	s_waitcnt vmcnt(0) lgkmcnt(0)
	s_barrier
	v_mul_f64 v[120:121], v[90:91], v[38:39]
	v_mul_f64 v[116:117], v[94:95], v[50:51]
	;; [unrolled: 1-line block ×16, first 2 shown]
	v_fma_f64 v[100:101], v[100:101], v[56:57], -v[108:109]
	v_fma_f64 v[102:103], v[102:103], v[56:57], v[110:111]
	v_fma_f64 v[96:97], v[96:97], v[52:53], -v[112:113]
	v_fma_f64 v[98:99], v[98:99], v[52:53], v[114:115]
	;; [unrolled: 2-line block ×4, first 2 shown]
	v_fma_f64 v[80:81], v[80:81], v[68:69], -v[128:129]
	v_fma_f64 v[108:109], v[84:85], v[64:65], -v[132:133]
	;; [unrolled: 1-line block ×3, first 2 shown]
	v_fma_f64 v[78:79], v[78:79], v[72:73], v[126:127]
	v_fma_f64 v[110:111], v[86:87], v[64:65], v[134:135]
	v_fma_f64 v[112:113], v[104:105], v[44:45], -v[136:137]
	v_fma_f64 v[106:107], v[106:107], v[44:45], v[138:139]
	v_add_f64 v[84:85], v[60:61], v[100:101]
	v_add_f64 v[86:87], v[96:97], v[92:93]
	v_add_f64 v[116:117], v[100:101], -v[96:97]
	v_add_f64 v[118:119], v[88:89], -v[92:93]
	v_add_f64 v[120:121], v[100:101], v[88:89]
	v_add_f64 v[122:123], v[96:97], -v[100:101]
	v_add_f64 v[124:125], v[92:93], -v[88:89]
	v_add_f64 v[126:127], v[62:63], v[102:103]
	v_add_f64 v[128:129], v[98:99], v[94:95]
	;; [unrolled: 1-line block ×4, first 2 shown]
	v_fma_f64 v[82:83], v[82:83], v[68:69], v[130:131]
	v_add_f64 v[104:105], v[102:103], -v[90:91]
	v_add_f64 v[114:115], v[98:99], -v[94:95]
	;; [unrolled: 1-line block ×7, first 2 shown]
	v_add_f64 v[84:85], v[84:85], v[96:97]
	v_add_f64 v[156:157], v[116:117], v[118:119]
	;; [unrolled: 1-line block ×4, first 2 shown]
	v_fma_f64 v[86:87], v[86:87], -0.5, v[60:61]
	v_fma_f64 v[60:61], v[120:121], -0.5, v[60:61]
	;; [unrolled: 1-line block ×5, first 2 shown]
	v_add_f64 v[102:103], v[98:99], -v[102:103]
	v_add_f64 v[138:139], v[94:95], -v[90:91]
	v_add_f64 v[140:141], v[40:41], v[76:77]
	v_add_f64 v[146:147], v[82:83], -v[110:111]
	v_add_f64 v[148:149], v[76:77], -v[80:81]
	;; [unrolled: 1-line block ×3, first 2 shown]
	v_add_f64 v[98:99], v[132:133], v[134:135]
	v_add_f64 v[84:85], v[84:85], v[92:93]
	v_fma_f64 v[92:93], v[104:105], s[6:7], v[86:87]
	v_fma_f64 v[86:87], v[104:105], s[18:19], v[86:87]
	;; [unrolled: 1-line block ×4, first 2 shown]
	v_add_f64 v[94:95], v[96:97], v[94:95]
	v_fma_f64 v[96:97], v[100:101], s[18:19], v[116:117]
	v_fma_f64 v[132:133], v[130:131], s[6:7], v[62:63]
	;; [unrolled: 1-line block ×3, first 2 shown]
	v_add_f64 v[120:121], v[102:103], v[138:139]
	v_add_f64 v[102:103], v[140:141], v[80:81]
	;; [unrolled: 1-line block ×3, first 2 shown]
	v_fma_f64 v[128:129], v[100:101], s[6:7], v[116:117]
	v_fma_f64 v[62:63], v[130:131], s[18:19], v[62:63]
	v_add_f64 v[116:117], v[84:85], v[88:89]
	v_fma_f64 v[84:85], v[114:115], s[0:1], v[92:93]
	v_fma_f64 v[86:87], v[114:115], s[16:17], v[86:87]
	;; [unrolled: 1-line block ×4, first 2 shown]
	v_add_f64 v[118:119], v[94:95], v[90:91]
	v_fma_f64 v[90:91], v[130:131], s[16:17], v[96:97]
	v_fma_f64 v[104:105], v[100:101], s[16:17], v[132:133]
	;; [unrolled: 1-line block ×3, first 2 shown]
	v_add_f64 v[152:153], v[76:77], v[112:113]
	v_add_f64 v[154:155], v[82:83], v[110:111]
	;; [unrolled: 1-line block ×3, first 2 shown]
	v_fma_f64 v[94:95], v[130:131], s[0:1], v[128:129]
	v_fma_f64 v[62:63], v[100:101], s[0:1], v[62:63]
	;; [unrolled: 1-line block ×6, first 2 shown]
	v_add_f64 v[114:115], v[78:79], v[106:107]
	v_fma_f64 v[40:41], v[152:153], -0.5, v[40:41]
	v_add_f64 v[96:97], v[102:103], v[112:113]
	v_fma_f64 v[88:89], v[122:123], s[2:3], v[88:89]
	v_fma_f64 v[92:93], v[122:123], s[2:3], v[60:61]
	;; [unrolled: 1-line block ×5, first 2 shown]
	v_add_f64 v[98:99], v[80:81], -v[76:77]
	v_add_f64 v[120:121], v[108:109], -v[112:113]
	v_add_f64 v[122:123], v[42:43], v[78:79]
	v_fma_f64 v[124:125], v[154:155], -0.5, v[42:43]
	v_add_f64 v[76:77], v[76:77], -v[112:113]
	v_add_f64 v[80:81], v[80:81], -v[108:109]
	v_fma_f64 v[42:43], v[114:115], -0.5, v[42:43]
	v_fma_f64 v[62:63], v[146:147], s[18:19], v[40:41]
	v_fma_f64 v[40:41], v[146:147], s[6:7], v[40:41]
	v_add_f64 v[98:99], v[98:99], v[120:121]
	v_add_f64 v[108:109], v[122:123], v[82:83]
	v_add_f64 v[114:115], v[78:79], -v[82:83]
	v_fma_f64 v[112:113], v[76:77], s[18:19], v[124:125]
	v_add_f64 v[120:121], v[106:107], -v[110:111]
	v_fma_f64 v[122:123], v[76:77], s[6:7], v[124:125]
	v_fma_f64 v[124:125], v[80:81], s[6:7], v[42:43]
	v_add_f64 v[78:79], v[82:83], -v[78:79]
	v_add_f64 v[82:83], v[110:111], -v[106:107]
	v_fma_f64 v[42:43], v[80:81], s[18:19], v[42:43]
	v_fma_f64 v[60:61], v[146:147], s[16:17], v[60:61]
	;; [unrolled: 1-line block ×4, first 2 shown]
	v_add_f64 v[110:111], v[108:109], v[110:111]
	v_fma_f64 v[128:129], v[80:81], s[16:17], v[112:113]
	v_add_f64 v[114:115], v[114:115], v[120:121]
	v_fma_f64 v[80:81], v[80:81], s[0:1], v[122:123]
	v_fma_f64 v[122:123], v[76:77], s[16:17], v[124:125]
	v_add_f64 v[78:79], v[78:79], v[82:83]
	v_fma_f64 v[42:43], v[76:77], s[0:1], v[42:43]
	v_fma_f64 v[84:85], v[156:157], s[2:3], v[84:85]
	;; [unrolled: 1-line block ×5, first 2 shown]
	v_add_f64 v[98:99], v[110:111], v[106:107]
	v_fma_f64 v[106:107], v[114:115], s[2:3], v[128:129]
	v_fma_f64 v[110:111], v[114:115], s[2:3], v[80:81]
	v_fma_f64 v[114:115], v[78:79], s[2:3], v[122:123]
	v_fma_f64 v[122:123], v[78:79], s[2:3], v[42:43]
	v_mul_u32_u24_e32 v40, 15, v158
	v_add_lshl_u32 v193, v40, v159, 4
	v_mad_legacy_u16 v40, v160, 15, v161
	ds_write_b128 v193, v[116:119]
	ds_write_b128 v193, v[84:87] offset:48
	ds_write_b128 v193, v[88:91] offset:96
	;; [unrolled: 1-line block ×4, first 2 shown]
	buffer_store_dword v40, off, s[48:51], 0 offset:28 ; 4-byte Folded Spill
	s_and_saveexec_b64 s[0:1], vcc
	s_cbranch_execz .LBB0_5
; %bb.4:
	buffer_load_dword v40, off, s[48:51], 0 offset:28 ; 4-byte Folded Reload
	s_waitcnt vmcnt(0)
	v_lshlrev_b32_e32 v40, 4, v40
	ds_write_b128 v40, v[96:99]
	ds_write_b128 v40, v[104:107] offset:48
	ds_write_b128 v40, v[112:115] offset:96
	;; [unrolled: 1-line block ×4, first 2 shown]
.LBB0_5:
	s_or_b64 exec, exec, s[0:1]
	s_movk_i32 s0, 0x87
	v_cmp_gt_u16_e64 s[0:1], s0, v192
	s_waitcnt vmcnt(0) lgkmcnt(0)
	s_barrier
	s_waitcnt lgkmcnt(0)
                                        ; implicit-def: $vgpr124_vgpr125
	s_and_saveexec_b64 s[2:3], s[0:1]
	s_cbranch_execz .LBB0_7
; %bb.6:
	ds_read_b128 v[116:119], v255
	ds_read_b128 v[84:87], v255 offset:2160
	ds_read_b128 v[88:91], v255 offset:4320
	ds_read_b128 v[92:95], v255 offset:6480
	ds_read_b128 v[100:103], v255 offset:8640
	ds_read_b128 v[96:99], v255 offset:10800
	ds_read_b128 v[104:107], v255 offset:12960
	ds_read_b128 v[112:115], v255 offset:15120
	ds_read_b128 v[120:123], v255 offset:17280
	ds_read_b128 v[108:111], v255 offset:19440
	ds_read_b128 v[124:127], v255 offset:21600
.LBB0_7:
	s_or_b64 exec, exec, s[2:3]
	s_movk_i32 s2, 0x89
	v_mul_lo_u16_sdwa v40, v192, s2 dst_sel:DWORD dst_unused:UNUSED_PAD src0_sel:BYTE_0 src1_sel:DWORD
	v_lshrrev_b16_e32 v40, 11, v40
	buffer_store_dword v40, off, s[48:51], 0 offset:8 ; 4-byte Folded Spill
	v_mul_lo_u16_e32 v40, 15, v40
	v_sub_u16_e32 v40, v192, v40
	v_and_b32_e32 v42, 0xff, v40
	v_mov_b32_e32 v41, s15
	s_movk_i32 s2, 0xa0
	v_mov_b32_e32 v40, s14
	v_mad_u64_u32 v[128:129], s[2:3], v42, s2, v[40:41]
	buffer_store_dword v42, off, s[48:51], 0 offset:12 ; 4-byte Folded Spill
	global_load_dwordx4 v[80:83], v[128:129], off offset:240
	global_load_dwordx4 v[76:79], v[128:129], off offset:224
	s_nop 0
	global_load_dwordx4 v[40:43], v[128:129], off offset:208
	global_load_dwordx4 v[60:63], v[128:129], off offset:192
	s_mov_b32 s16, 0xf8bb580b
	s_mov_b32 s17, 0xbfe14ced
	;; [unrolled: 1-line block ×26, first 2 shown]
	s_waitcnt vmcnt(0) lgkmcnt(9)
	v_mul_f64 v[130:131], v[86:87], v[62:63]
	v_fma_f64 v[150:151], v[84:85], v[60:61], -v[130:131]
	v_mul_f64 v[84:85], v[84:85], v[62:63]
	v_fma_f64 v[158:159], v[86:87], v[60:61], v[84:85]
	s_waitcnt lgkmcnt(8)
	v_mul_f64 v[84:85], v[90:91], v[42:43]
	v_fma_f64 v[140:141], v[88:89], v[40:41], -v[84:85]
	v_mul_f64 v[84:85], v[88:89], v[42:43]
	v_fma_f64 v[160:161], v[90:91], v[40:41], v[84:85]
	s_waitcnt lgkmcnt(7)
	;; [unrolled: 5-line block ×3, first 2 shown]
	v_mul_f64 v[84:85], v[102:103], v[82:83]
	v_fma_f64 v[132:133], v[100:101], v[80:81], -v[84:85]
	v_mul_f64 v[84:85], v[100:101], v[82:83]
	v_fma_f64 v[166:167], v[102:103], v[80:81], v[84:85]
	global_load_dwordx4 v[84:87], v[128:129], off offset:304
	global_load_dwordx4 v[88:91], v[128:129], off offset:288
	;; [unrolled: 1-line block ×4, first 2 shown]
	s_waitcnt vmcnt(0) lgkmcnt(5)
	v_mul_f64 v[130:131], v[98:99], v[102:103]
	v_fma_f64 v[156:157], v[96:97], v[100:101], -v[130:131]
	v_mul_f64 v[96:97], v[96:97], v[102:103]
	v_fma_f64 v[168:169], v[98:99], v[100:101], v[96:97]
	s_waitcnt lgkmcnt(4)
	v_mul_f64 v[96:97], v[106:107], v[94:95]
	v_fma_f64 v[152:153], v[104:105], v[92:93], -v[96:97]
	v_mul_f64 v[96:97], v[104:105], v[94:95]
	v_add_f64 v[235:236], v[156:157], v[152:153]
	v_fma_f64 v[170:171], v[106:107], v[92:93], v[96:97]
	s_waitcnt lgkmcnt(3)
	v_mul_f64 v[96:97], v[114:115], v[90:91]
	v_add_f64 v[241:242], v[156:157], -v[152:153]
	v_add_f64 v[249:250], v[168:169], -v[170:171]
	v_fma_f64 v[146:147], v[112:113], v[88:89], -v[96:97]
	v_mul_f64 v[96:97], v[112:113], v[90:91]
	v_add_f64 v[251:252], v[168:169], v[170:171]
	v_mul_f64 v[227:228], v[241:242], s[38:39]
	v_mul_f64 v[180:181], v[241:242], s[40:41]
	;; [unrolled: 1-line block ×3, first 2 shown]
	v_add_f64 v[223:224], v[132:133], v[146:147]
	v_fma_f64 v[172:173], v[114:115], v[88:89], v[96:97]
	s_waitcnt lgkmcnt(2)
	v_mul_f64 v[96:97], v[122:123], v[86:87]
	v_add_f64 v[233:234], v[132:133], -v[146:147]
	v_mul_f64 v[253:254], v[249:250], s[40:41]
	v_add_f64 v[245:246], v[166:167], -v[172:173]
	v_fma_f64 v[130:131], v[120:121], v[84:85], -v[96:97]
	v_mul_f64 v[96:97], v[120:121], v[86:87]
	v_add_f64 v[247:248], v[166:167], v[172:173]
	v_mul_f64 v[213:214], v[233:234], s[24:25]
	v_mul_f64 v[231:232], v[233:234], s[36:37]
	;; [unrolled: 1-line block ×3, first 2 shown]
	v_add_f64 v[215:216], v[134:135], v[130:131]
	v_fma_f64 v[174:175], v[122:123], v[84:85], v[96:97]
	global_load_dwordx4 v[96:99], v[128:129], off offset:336
	global_load_dwordx4 v[104:107], v[128:129], off offset:320
	v_add_f64 v[217:218], v[134:135], -v[130:131]
	v_mul_f64 v[221:222], v[245:246], s[36:37]
	s_waitcnt vmcnt(0) lgkmcnt(0)
	s_barrier
	v_add_f64 v[239:240], v[164:165], -v[174:175]
	v_add_f64 v[243:244], v[164:165], v[174:175]
	v_mul_f64 v[187:188], v[217:218], s[26:27]
	v_mul_f64 v[219:220], v[217:218], s[30:31]
	;; [unrolled: 1-line block ×5, first 2 shown]
	v_fma_f64 v[162:163], v[108:109], v[104:105], -v[112:113]
	v_mul_f64 v[108:109], v[108:109], v[106:107]
	v_add_f64 v[199:200], v[140:141], v[162:163]
	v_fma_f64 v[176:177], v[110:111], v[104:105], v[108:109]
	v_mul_f64 v[108:109], v[126:127], v[98:99]
	v_add_f64 v[207:208], v[140:141], -v[162:163]
	v_add_f64 v[229:230], v[160:161], -v[176:177]
	v_fma_f64 v[154:155], v[124:125], v[96:97], -v[108:109]
	v_mul_f64 v[108:109], v[124:125], v[98:99]
	v_add_f64 v[237:238], v[160:161], v[176:177]
	v_mul_f64 v[142:143], v[207:208], s[34:35]
	v_mul_f64 v[205:206], v[207:208], s[24:25]
	;; [unrolled: 1-line block ×3, first 2 shown]
	v_add_f64 v[184:185], v[150:151], v[154:155]
	v_fma_f64 v[178:179], v[126:127], v[96:97], v[108:109]
	v_add_f64 v[195:196], v[150:151], -v[154:155]
	v_mul_f64 v[126:127], v[229:230], s[34:35]
	v_add_f64 v[136:137], v[158:159], -v[178:179]
	v_add_f64 v[138:139], v[158:159], v[178:179]
	v_mul_f64 v[124:125], v[195:196], s[16:17]
	v_fma_f64 v[120:121], v[199:200], s[6:7], v[126:127]
	v_mul_f64 v[144:145], v[195:196], s[34:35]
	v_mul_f64 v[122:123], v[136:137], s[16:17]
	;; [unrolled: 1-line block ×3, first 2 shown]
	v_fma_f64 v[110:111], v[138:139], s[2:3], -v[124:125]
	v_fma_f64 v[114:115], v[138:139], s[6:7], -v[144:145]
	v_fma_f64 v[108:109], v[184:185], s[2:3], v[122:123]
	v_fma_f64 v[112:113], v[184:185], s[6:7], v[128:129]
	v_add_f64 v[110:111], v[118:119], v[110:111]
	v_add_f64 v[114:115], v[118:119], v[114:115]
	;; [unrolled: 1-line block ×5, first 2 shown]
	v_fma_f64 v[120:121], v[237:238], s[6:7], -v[142:143]
	v_add_f64 v[110:111], v[120:121], v[110:111]
	v_fma_f64 v[120:121], v[199:200], s[18:19], v[148:149]
	v_add_f64 v[112:113], v[120:121], v[112:113]
	v_fma_f64 v[120:121], v[237:238], s[18:19], -v[205:206]
	v_add_f64 v[114:115], v[120:121], v[114:115]
	v_fma_f64 v[120:121], v[215:216], s[20:21], v[182:183]
	v_add_f64 v[108:109], v[120:121], v[108:109]
	;; [unrolled: 4-line block ×7, first 2 shown]
	v_fma_f64 v[120:121], v[251:252], s[2:3], -v[180:181]
	v_add_f64 v[114:115], v[120:121], v[114:115]
	s_and_saveexec_b64 s[22:23], s[0:1]
	s_cbranch_execz .LBB0_9
; %bb.8:
	v_mul_f64 v[120:121], v[184:185], s[2:3]
	s_mov_b32 s45, 0x3fe82f19
	s_mov_b32 s44, s24
	;; [unrolled: 1-line block ×4, first 2 shown]
	buffer_store_dword v120, off, s[48:51], 0 offset:80 ; 4-byte Folded Spill
	s_nop 0
	buffer_store_dword v121, off, s[48:51], 0 offset:84 ; 4-byte Folded Spill
	v_mul_f64 v[120:121], v[138:139], s[2:3]
	buffer_store_dword v120, off, s[48:51], 0 offset:104 ; 4-byte Folded Spill
	s_nop 0
	buffer_store_dword v121, off, s[48:51], 0 offset:108 ; 4-byte Folded Spill
	v_mul_f64 v[120:121], v[184:185], s[6:7]
	;; [unrolled: 4-line block ×19, first 2 shown]
	buffer_store_dword v120, off, s[48:51], 0 offset:280 ; 4-byte Folded Spill
	s_nop 0
	buffer_store_dword v121, off, s[48:51], 0 offset:284 ; 4-byte Folded Spill
	buffer_store_dword v124, off, s[48:51], 0 offset:184 ; 4-byte Folded Spill
	s_nop 0
	buffer_store_dword v125, off, s[48:51], 0 offset:188 ; 4-byte Folded Spill
	;; [unrolled: 3-line block ×9, first 2 shown]
	v_mul_f64 v[187:188], v[138:139], s[28:29]
	v_mul_f64 v[132:133], v[237:238], s[2:3]
	;; [unrolled: 1-line block ×5, first 2 shown]
	buffer_store_dword v182, off, s[48:51], 0 offset:264 ; 4-byte Folded Spill
	s_nop 0
	buffer_store_dword v183, off, s[48:51], 0 offset:268 ; 4-byte Folded Spill
	buffer_store_dword v140, off, s[48:51], 0 offset:72 ; 4-byte Folded Spill
	s_nop 0
	buffer_store_dword v141, off, s[48:51], 0 offset:76 ; 4-byte Folded Spill
	;; [unrolled: 3-line block ×3, first 2 shown]
	v_fma_f64 v[189:190], v[195:196], s[30:31], v[187:188]
	v_fma_f64 v[134:135], v[207:208], s[16:17], v[132:133]
	v_fma_f64 v[130:131], v[217:218], s[44:45], v[128:129]
	v_fma_f64 v[122:123], v[233:234], s[34:35], v[126:127]
	v_fma_f64 v[120:121], v[241:242], s[36:37], v[124:125]
	v_mul_f64 v[142:143], v[136:137], s[38:39]
	v_mul_f64 v[140:141], v[229:230], s[40:41]
	;; [unrolled: 1-line block ×3, first 2 shown]
	v_add_f64 v[189:190], v[118:119], v[189:190]
	v_fma_f64 v[201:202], v[199:200], s[2:3], v[140:141]
	v_fma_f64 v[197:198], v[215:216], s[18:19], v[182:183]
	v_add_f64 v[134:135], v[134:135], v[189:190]
	v_add_f64 v[130:131], v[130:131], v[134:135]
	v_mul_f64 v[134:135], v[245:246], s[42:43]
	v_add_f64 v[122:123], v[122:123], v[130:131]
	v_mul_f64 v[130:131], v[249:250], s[26:27]
	v_fma_f64 v[189:190], v[223:224], s[6:7], v[134:135]
	v_add_f64 v[203:204], v[120:121], v[122:123]
	v_fma_f64 v[122:123], v[184:185], s[28:29], v[142:143]
	v_fma_f64 v[120:121], v[235:236], s[20:21], v[130:131]
	v_add_f64 v[122:123], v[116:117], v[122:123]
	v_add_f64 v[122:123], v[201:202], v[122:123]
	;; [unrolled: 1-line block ×4, first 2 shown]
	v_mul_f64 v[189:190], v[239:240], s[16:17]
	v_add_f64 v[201:202], v[120:121], v[122:123]
	v_fma_f64 v[120:121], v[241:242], s[26:27], v[124:125]
	v_fma_f64 v[124:125], v[217:218], s[24:25], v[128:129]
	;; [unrolled: 1-line block ×5, first 2 shown]
	buffer_store_dword v201, off, s[48:51], 0 offset:48 ; 4-byte Folded Spill
	s_nop 0
	buffer_store_dword v202, off, s[48:51], 0 offset:52 ; 4-byte Folded Spill
	buffer_store_dword v203, off, s[48:51], 0 offset:56 ; 4-byte Folded Spill
	;; [unrolled: 1-line block ×4, first 2 shown]
	s_nop 0
	buffer_store_dword v151, off, s[48:51], 0 offset:308 ; 4-byte Folded Spill
	v_mov_b32_e32 v151, v149
	v_add_f64 v[128:129], v[118:119], v[128:129]
	v_mov_b32_e32 v150, v148
	v_mov_b32_e32 v149, v145
	;; [unrolled: 1-line block ×3, first 2 shown]
	v_mul_f64 v[144:145], v[136:137], s[24:25]
	buffer_store_dword v146, off, s[48:51], 0 offset:296 ; 4-byte Folded Spill
	s_nop 0
	buffer_store_dword v147, off, s[48:51], 0 offset:300 ; 4-byte Folded Spill
	v_mul_f64 v[132:133], v[247:248], s[28:29]
	v_mul_f64 v[201:202], v[229:230], s[36:37]
	v_add_f64 v[126:127], v[126:127], v[128:129]
	v_fma_f64 v[128:129], v[199:200], s[2:3], -v[140:141]
	v_mul_f64 v[140:141], v[237:238], s[20:21]
	v_fma_f64 v[197:198], v[215:216], s[2:3], v[189:190]
	v_fma_f64 v[146:147], v[184:185], s[18:19], v[144:145]
	;; [unrolled: 1-line block ×3, first 2 shown]
	v_add_f64 v[124:125], v[124:125], v[126:127]
	v_add_f64 v[146:147], v[116:117], v[146:147]
	;; [unrolled: 1-line block ×3, first 2 shown]
	v_fma_f64 v[124:125], v[215:216], s[18:19], -v[182:183]
	v_mul_f64 v[182:183], v[138:139], s[18:19]
	v_add_f64 v[146:147], v[203:204], v[146:147]
	v_mul_f64 v[203:204], v[229:230], s[30:31]
	v_add_f64 v[126:127], v[120:121], v[122:123]
	v_fma_f64 v[120:121], v[235:236], s[20:21], -v[130:131]
	v_fma_f64 v[130:131], v[184:185], s[28:29], -v[142:143]
	v_fma_f64 v[187:188], v[195:196], s[44:45], v[182:183]
	v_fma_f64 v[122:123], v[223:224], s[6:7], -v[134:135]
	v_mul_f64 v[134:135], v[243:244], s[2:3]
	v_fma_f64 v[142:143], v[207:208], s[26:27], v[140:141]
	v_add_f64 v[146:147], v[197:198], v[146:147]
	v_fma_f64 v[140:141], v[207:208], s[36:37], v[140:141]
	v_mul_f64 v[197:198], v[239:240], s[42:43]
	v_add_f64 v[130:131], v[116:117], v[130:131]
	v_add_f64 v[187:188], v[118:119], v[187:188]
	v_fma_f64 v[229:230], v[199:200], s[28:29], v[203:204]
	v_add_f64 v[128:129], v[128:129], v[130:131]
	v_fma_f64 v[130:131], v[217:218], s[40:41], v[134:135]
	;; [unrolled: 2-line block ×4, first 2 shown]
	v_add_f64 v[130:131], v[130:131], v[142:143]
	v_mul_f64 v[142:143], v[245:246], s[38:39]
	v_fma_f64 v[132:133], v[233:234], s[38:39], v[132:133]
	v_add_f64 v[122:123], v[122:123], v[124:125]
	v_add_f64 v[128:129], v[128:129], v[130:131]
	v_fma_f64 v[187:188], v[223:224], s[28:29], v[142:143]
	v_add_f64 v[124:125], v[120:121], v[122:123]
	v_mul_f64 v[120:121], v[251:252], s[6:7]
	v_add_f64 v[146:147], v[187:188], v[146:147]
	v_fma_f64 v[122:123], v[241:242], s[34:35], v[120:121]
	v_fma_f64 v[120:121], v[241:242], s[42:43], v[120:121]
	v_add_f64 v[130:131], v[122:123], v[128:129]
	v_mul_f64 v[122:123], v[249:250], s[42:43]
	v_fma_f64 v[128:129], v[235:236], s[6:7], v[122:123]
	v_add_f64 v[128:129], v[128:129], v[146:147]
	v_fma_f64 v[146:147], v[195:196], s[24:25], v[182:183]
	v_mul_f64 v[182:183], v[237:238], s[28:29]
	v_mul_f64 v[237:238], v[136:137], s[26:27]
	v_add_f64 v[146:147], v[118:119], v[146:147]
	v_fma_f64 v[187:188], v[207:208], s[38:39], v[182:183]
	v_fma_f64 v[136:137], v[184:185], s[20:21], v[237:238]
	v_add_f64 v[140:141], v[140:141], v[146:147]
	v_add_f64 v[136:137], v[116:117], v[136:137]
	;; [unrolled: 1-line block ×3, first 2 shown]
	v_fma_f64 v[140:141], v[199:200], s[20:21], -v[201:202]
	v_fma_f64 v[201:202], v[215:216], s[6:7], v[197:198]
	v_add_f64 v[136:137], v[229:230], v[136:137]
	v_add_f64 v[132:133], v[132:133], v[134:135]
	;; [unrolled: 1-line block ×4, first 2 shown]
	v_fma_f64 v[120:121], v[235:236], s[6:7], -v[122:123]
	v_fma_f64 v[122:123], v[223:224], s[28:29], -v[142:143]
	;; [unrolled: 1-line block ×4, first 2 shown]
	v_mul_f64 v[189:190], v[138:139], s[20:21]
	v_mul_f64 v[144:145], v[243:244], s[6:7]
	v_add_f64 v[142:143], v[116:117], v[142:143]
	v_fma_f64 v[138:139], v[195:196], s[36:37], v[189:190]
	v_fma_f64 v[146:147], v[217:218], s[34:35], v[144:145]
	v_add_f64 v[140:141], v[140:141], v[142:143]
	v_add_f64 v[138:139], v[118:119], v[138:139]
	v_add_f64 v[132:133], v[132:133], v[140:141]
	v_mul_f64 v[140:141], v[247:248], s[2:3]
	v_add_f64 v[138:139], v[187:188], v[138:139]
	v_add_f64 v[122:123], v[122:123], v[132:133]
	v_fma_f64 v[142:143], v[233:234], s[40:41], v[140:141]
	v_add_f64 v[138:139], v[146:147], v[138:139]
	v_mul_f64 v[146:147], v[245:246], s[16:17]
	v_fma_f64 v[140:141], v[233:234], s[16:17], v[140:141]
	v_add_f64 v[132:133], v[120:121], v[122:123]
	v_mul_f64 v[120:121], v[251:252], s[18:19]
	v_add_f64 v[138:139], v[142:143], v[138:139]
	v_fma_f64 v[187:188], v[223:224], s[2:3], v[146:147]
	v_fma_f64 v[122:123], v[241:242], s[44:45], v[120:121]
	v_fma_f64 v[120:121], v[241:242], s[24:25], v[120:121]
	v_add_f64 v[136:137], v[187:188], v[136:137]
	v_add_f64 v[138:139], v[122:123], v[138:139]
	v_mul_f64 v[122:123], v[249:250], s[24:25]
	v_fma_f64 v[142:143], v[235:236], s[18:19], v[122:123]
	v_add_f64 v[136:137], v[142:143], v[136:137]
	v_fma_f64 v[142:143], v[217:218], s[42:43], v[144:145]
	v_fma_f64 v[144:145], v[207:208], s[30:31], v[182:183]
	;; [unrolled: 1-line block ×3, first 2 shown]
	v_add_f64 v[182:183], v[118:119], v[182:183]
	v_add_f64 v[144:145], v[144:145], v[182:183]
	v_add_f64 v[142:143], v[142:143], v[144:145]
	v_fma_f64 v[144:145], v[184:185], s[20:21], -v[237:238]
	v_add_f64 v[140:141], v[140:141], v[142:143]
	v_fma_f64 v[142:143], v[199:200], s[28:29], -v[203:204]
	v_add_f64 v[144:145], v[116:117], v[144:145]
	v_add_f64 v[217:218], v[120:121], v[140:141]
	v_fma_f64 v[140:141], v[215:216], s[6:7], -v[197:198]
	v_add_f64 v[142:143], v[142:143], v[144:145]
	v_fma_f64 v[120:121], v[235:236], s[18:19], -v[122:123]
	v_fma_f64 v[122:123], v[223:224], s[2:3], -v[146:147]
	v_add_f64 v[140:141], v[140:141], v[142:143]
	v_add_f64 v[122:123], v[122:123], v[140:141]
	;; [unrolled: 1-line block ×3, first 2 shown]
	buffer_load_dword v120, off, s[48:51], 0 offset:280 ; 4-byte Folded Reload
	buffer_load_dword v121, off, s[48:51], 0 offset:284 ; 4-byte Folded Reload
	;; [unrolled: 1-line block ×10, first 2 shown]
	s_waitcnt vmcnt(8)
	v_add_f64 v[120:121], v[180:181], v[120:121]
	s_waitcnt vmcnt(6)
	v_add_f64 v[122:123], v[231:232], v[122:123]
	;; [unrolled: 2-line block ×5, first 2 shown]
	v_add_f64 v[144:145], v[118:119], v[144:145]
	v_add_f64 v[142:143], v[142:143], v[144:145]
	;; [unrolled: 1-line block ×5, first 2 shown]
	buffer_load_dword v120, off, s[48:51], 0 offset:224 ; 4-byte Folded Reload
	buffer_load_dword v121, off, s[48:51], 0 offset:228 ; 4-byte Folded Reload
	;; [unrolled: 1-line block ×12, first 2 shown]
	s_waitcnt vmcnt(10)
	v_add_f64 v[120:121], v[120:121], -v[253:254]
	s_waitcnt vmcnt(8)
	v_add_f64 v[122:123], v[122:123], -v[221:222]
	;; [unrolled: 2-line block ×5, first 2 shown]
	v_add_f64 v[144:145], v[116:117], v[144:145]
	v_add_f64 v[142:143], v[142:143], v[144:145]
	;; [unrolled: 1-line block ×5, first 2 shown]
	buffer_load_dword v120, off, s[48:51], 0 offset:192 ; 4-byte Folded Reload
	buffer_load_dword v121, off, s[48:51], 0 offset:196 ; 4-byte Folded Reload
	;; [unrolled: 1-line block ×8, first 2 shown]
	s_waitcnt vmcnt(6)
	v_add_f64 v[120:121], v[227:228], v[120:121]
	s_waitcnt vmcnt(4)
	v_add_f64 v[122:123], v[213:214], v[122:123]
	;; [unrolled: 2-line block ×3, first 2 shown]
	buffer_load_dword v142, off, s[48:51], 0 offset:120 ; 4-byte Folded Reload
	buffer_load_dword v143, off, s[48:51], 0 offset:124 ; 4-byte Folded Reload
	;; [unrolled: 1-line block ×4, first 2 shown]
	s_waitcnt vmcnt(0)
	v_add_f64 v[142:143], v[144:145], v[142:143]
	buffer_load_dword v144, off, s[48:51], 0 offset:104 ; 4-byte Folded Reload
	buffer_load_dword v145, off, s[48:51], 0 offset:108 ; 4-byte Folded Reload
	;; [unrolled: 1-line block ×4, first 2 shown]
	s_waitcnt vmcnt(0)
	v_add_f64 v[144:145], v[146:147], v[144:145]
	v_add_f64 v[144:145], v[118:119], v[144:145]
	;; [unrolled: 1-line block ×10, first 2 shown]
	buffer_load_dword v120, off, s[48:51], 0 offset:128 ; 4-byte Folded Reload
	buffer_load_dword v121, off, s[48:51], 0 offset:132 ; 4-byte Folded Reload
	;; [unrolled: 1-line block ×8, first 2 shown]
	v_add_f64 v[118:119], v[118:119], v[168:169]
	v_add_f64 v[118:119], v[118:119], v[170:171]
	;; [unrolled: 1-line block ×6, first 2 shown]
	s_waitcnt vmcnt(6)
	v_add_f64 v[120:121], v[120:121], -v[225:226]
	s_waitcnt vmcnt(4)
	v_add_f64 v[122:123], v[122:123], -v[209:210]
	;; [unrolled: 2-line block ×3, first 2 shown]
	buffer_load_dword v142, off, s[48:51], 0 offset:88 ; 4-byte Folded Reload
	buffer_load_dword v143, off, s[48:51], 0 offset:92 ; 4-byte Folded Reload
	;; [unrolled: 1-line block ×4, first 2 shown]
	s_waitcnt vmcnt(0)
	v_add_f64 v[142:143], v[142:143], -v[144:145]
	buffer_load_dword v144, off, s[48:51], 0 offset:80 ; 4-byte Folded Reload
	buffer_load_dword v145, off, s[48:51], 0 offset:84 ; 4-byte Folded Reload
	;; [unrolled: 1-line block ×4, first 2 shown]
	s_waitcnt vmcnt(0)
	v_add_f64 v[144:145], v[144:145], -v[146:147]
	v_add_f64 v[144:145], v[116:117], v[144:145]
	v_add_f64 v[142:143], v[142:143], v[144:145]
	;; [unrolled: 1-line block ×5, first 2 shown]
	buffer_load_dword v120, off, s[48:51], 0 offset:304 ; 4-byte Folded Reload
	buffer_load_dword v121, off, s[48:51], 0 offset:308 ; 4-byte Folded Reload
	s_waitcnt vmcnt(0)
	v_add_f64 v[116:117], v[116:117], v[120:121]
	buffer_load_dword v120, off, s[48:51], 0 offset:72 ; 4-byte Folded Reload
	buffer_load_dword v121, off, s[48:51], 0 offset:76 ; 4-byte Folded Reload
	s_waitcnt vmcnt(0)
	v_add_f64 v[116:117], v[116:117], v[120:121]
	;; [unrolled: 4-line block ×4, first 2 shown]
	buffer_load_dword v120, off, s[48:51], 0 offset:296 ; 4-byte Folded Reload
	buffer_load_dword v121, off, s[48:51], 0 offset:300 ; 4-byte Folded Reload
	v_add_f64 v[116:117], v[116:117], v[156:157]
	v_add_f64 v[116:117], v[116:117], v[152:153]
	s_waitcnt vmcnt(0)
	v_add_f64 v[116:117], v[116:117], v[120:121]
	buffer_load_dword v120, off, s[48:51], 0 offset:32 ; 4-byte Folded Reload
	buffer_load_dword v121, off, s[48:51], 0 offset:36 ; 4-byte Folded Reload
	s_waitcnt vmcnt(0)
	v_add_f64 v[116:117], v[116:117], v[120:121]
	buffer_load_dword v120, off, s[48:51], 0 offset:8 ; 4-byte Folded Reload
	buffer_load_dword v121, off, s[48:51], 0 offset:12 ; 4-byte Folded Reload
	v_add_f64 v[116:117], v[116:117], v[162:163]
	v_add_f64 v[116:117], v[116:117], v[154:155]
	s_waitcnt vmcnt(1)
	v_mul_u32_u24_e32 v120, 0xa5, v120
	s_waitcnt vmcnt(0)
	v_add_lshl_u32 v120, v120, v121, 4
	ds_write_b128 v120, v[116:119]
	ds_write_b128 v120, v[187:190] offset:240
	ds_write_b128 v120, v[180:183] offset:480
	;; [unrolled: 1-line block ×5, first 2 shown]
	buffer_load_dword v116, off, s[48:51], 0 offset:48 ; 4-byte Folded Reload
	buffer_load_dword v117, off, s[48:51], 0 offset:52 ; 4-byte Folded Reload
	buffer_load_dword v118, off, s[48:51], 0 offset:56 ; 4-byte Folded Reload
	buffer_load_dword v119, off, s[48:51], 0 offset:60 ; 4-byte Folded Reload
	s_waitcnt vmcnt(0)
	ds_write_b128 v120, v[116:119] offset:1440
	ds_write_b128 v120, v[128:131] offset:1680
	;; [unrolled: 1-line block ×5, first 2 shown]
.LBB0_9:
	s_or_b64 exec, exec, s[22:23]
	v_lshlrev_b32_e32 v116, 4, v192
	v_add_co_u32_e64 v176, s[2:3], s12, v116
	v_mov_b32_e32 v116, s13
	v_addc_co_u32_e64 v177, s[2:3], 0, v116, s[2:3]
	v_lshlrev_b32_e32 v120, 5, v192
	s_waitcnt lgkmcnt(0)
	s_barrier
	ds_read_b128 v[134:137], v255
	ds_read_b128 v[124:127], v255 offset:7920
	ds_read_b128 v[128:131], v255 offset:15840
	;; [unrolled: 1-line block ×8, first 2 shown]
	v_add_co_u32_e64 v132, s[2:3], s14, v120
	global_load_dwordx4 v[116:119], v120, s[14:15] offset:2608
	s_nop 0
	global_load_dwordx4 v[120:123], v120, s[14:15] offset:2592
	v_mov_b32_e32 v178, s15
	v_addc_co_u32_e64 v133, s[2:3], 0, v178, s[2:3]
	s_mov_b32 s2, 0x8d31
	s_mov_b32 s6, 0xe8584caa
	;; [unrolled: 1-line block ×5, first 2 shown]
	s_movk_i32 s15, 0x1ec0
	s_movk_i32 s16, 0x1000
	s_waitcnt vmcnt(0) lgkmcnt(7)
	v_mul_f64 v[162:163], v[126:127], v[122:123]
	v_fma_f64 v[162:163], v[124:125], v[120:121], -v[162:163]
	v_mul_f64 v[124:125], v[124:125], v[122:123]
	v_fma_f64 v[164:165], v[126:127], v[120:121], v[124:125]
	s_waitcnt lgkmcnt(6)
	v_mul_f64 v[124:125], v[130:131], v[118:119]
	v_fma_f64 v[166:167], v[128:129], v[116:117], -v[124:125]
	v_mul_f64 v[124:125], v[128:129], v[118:119]
	v_fma_f64 v[168:169], v[130:131], v[116:117], v[124:125]
	s_waitcnt lgkmcnt(4)
	;; [unrolled: 5-line block ×3, first 2 shown]
	v_mul_f64 v[124:125], v[148:149], v[118:119]
	v_add_f64 v[144:145], v[162:163], v[166:167]
	v_fma_f64 v[174:175], v[146:147], v[116:117], -v[124:125]
	v_mul_f64 v[124:125], v[146:147], v[118:119]
	v_fma_f64 v[144:145], v[144:145], -0.5, v[134:135]
	v_add_f64 v[146:147], v[164:165], -v[168:169]
	v_fma_f64 v[179:180], v[148:149], v[116:117], v[124:125]
	v_mul_u32_u24_sdwa v124, v194, s2 dst_sel:DWORD dst_unused:UNUSED_PAD src0_sel:WORD_0 src1_sel:DWORD
	v_sub_u16_sdwa v125, v194, v124 dst_sel:DWORD dst_unused:UNUSED_PAD src0_sel:DWORD src1_sel:WORD_1
	v_lshrrev_b16_e32 v125, 1, v125
	v_add_u16_sdwa v124, v125, v124 dst_sel:DWORD dst_unused:UNUSED_PAD src0_sel:DWORD src1_sel:WORD_1
	v_lshrrev_b16_e32 v124, 7, v124
	v_mul_lo_u16_e32 v124, 0xa5, v124
	v_sub_u16_e32 v185, v194, v124
	v_lshlrev_b16_e32 v124, 5, v185
	v_add_co_u32_e64 v128, s[2:3], s14, v124
	v_addc_co_u32_e64 v129, s[2:3], 0, v178, s[2:3]
	global_load_dwordx4 v[124:127], v[128:129], off offset:2608
	s_nop 0
	global_load_dwordx4 v[128:131], v[128:129], off offset:2592
	v_add_f64 v[148:149], v[164:165], v[168:169]
	s_waitcnt vmcnt(0) lgkmcnt(0)
	s_barrier
	v_lshlrev_b32_e32 v195, 4, v185
	v_fma_f64 v[148:149], v[148:149], -0.5, v[136:137]
	v_mul_f64 v[142:143], v[156:157], v[130:131]
	v_fma_f64 v[181:182], v[154:155], v[128:129], -v[142:143]
	v_mul_f64 v[142:143], v[154:155], v[130:131]
	v_add_f64 v[154:155], v[162:163], -v[166:167]
	v_fma_f64 v[183:184], v[156:157], v[128:129], v[142:143]
	v_mul_f64 v[142:143], v[160:161], v[126:127]
	v_add_f64 v[156:157], v[170:171], v[174:175]
	v_fma_f64 v[187:188], v[158:159], v[124:125], -v[142:143]
	v_mul_f64 v[142:143], v[158:159], v[126:127]
	v_fma_f64 v[156:157], v[156:157], -0.5, v[138:139]
	v_add_f64 v[158:159], v[172:173], -v[179:180]
	v_fma_f64 v[189:190], v[160:161], v[124:125], v[142:143]
	v_add_f64 v[142:143], v[134:135], v[162:163]
	v_fma_f64 v[134:135], v[146:147], s[6:7], v[144:145]
	v_fma_f64 v[146:147], v[146:147], s[12:13], v[144:145]
	v_add_f64 v[144:145], v[136:137], v[164:165]
	v_add_f64 v[160:161], v[172:173], v[179:180]
	;; [unrolled: 1-line block ×3, first 2 shown]
	v_add_f64 v[162:163], v[170:171], -v[174:175]
	v_fma_f64 v[136:137], v[154:155], s[12:13], v[148:149]
	v_add_f64 v[142:143], v[142:143], v[166:167]
	v_add_f64 v[166:167], v[183:184], -v[189:190]
	v_fma_f64 v[148:149], v[154:155], s[6:7], v[148:149]
	v_add_f64 v[144:145], v[144:145], v[168:169]
	v_fma_f64 v[160:161], v[160:161], -0.5, v[140:141]
	v_fma_f64 v[164:165], v[164:165], -0.5, v[150:151]
	v_add_f64 v[168:169], v[183:184], v[189:190]
	v_add_f64 v[154:155], v[138:139], v[170:171]
	v_fma_f64 v[138:139], v[158:159], s[6:7], v[156:157]
	v_fma_f64 v[158:159], v[158:159], s[12:13], v[156:157]
	v_add_f64 v[156:157], v[140:141], v[172:173]
	v_add_f64 v[170:171], v[181:182], -v[187:188]
	v_fma_f64 v[140:141], v[162:163], s[12:13], v[160:161]
	v_fma_f64 v[160:161], v[162:163], s[6:7], v[160:161]
	v_add_f64 v[162:163], v[150:151], v[181:182]
	v_fma_f64 v[150:151], v[166:167], s[6:7], v[164:165]
	v_fma_f64 v[166:167], v[166:167], s[12:13], v[164:165]
	v_add_f64 v[164:165], v[152:153], v[183:184]
	v_fma_f64 v[168:169], v[168:169], -0.5, v[152:153]
	v_add_f64 v[154:155], v[154:155], v[174:175]
	v_add_f64 v[156:157], v[156:157], v[179:180]
	ds_write_b128 v255, v[142:145]
	ds_write_b128 v255, v[134:137] offset:2640
	ds_write_b128 v255, v[146:149] offset:5280
	;; [unrolled: 1-line block ×5, first 2 shown]
	v_add_f64 v[162:163], v[162:163], v[187:188]
	v_add_f64 v[164:165], v[164:165], v[189:190]
	v_fma_f64 v[152:153], v[170:171], s[12:13], v[168:169]
	v_fma_f64 v[168:169], v[170:171], s[6:7], v[168:169]
	v_add_co_u32_e64 v134, s[2:3], s15, v132
	v_addc_co_u32_e64 v135, s[2:3], 0, v133, s[2:3]
	v_add_co_u32_e64 v132, s[2:3], s16, v132
	v_addc_co_u32_e64 v133, s[2:3], 0, v133, s[2:3]
	ds_write_b128 v195, v[162:165] offset:15840
	ds_write_b128 v195, v[150:153] offset:18480
	;; [unrolled: 1-line block ×3, first 2 shown]
	s_waitcnt lgkmcnt(0)
	s_barrier
	ds_read_b128 v[164:167], v255
	ds_read_b128 v[144:147], v255 offset:7920
	ds_read_b128 v[140:143], v255 offset:15840
	;; [unrolled: 1-line block ×8, first 2 shown]
	global_load_dwordx4 v[136:139], v[132:133], off offset:3776
	s_nop 0
	global_load_dwordx4 v[132:135], v[134:135], off offset:16
	s_waitcnt vmcnt(1) lgkmcnt(7)
	v_mul_f64 v[179:180], v[146:147], v[138:139]
	v_fma_f64 v[179:180], v[144:145], v[136:137], -v[179:180]
	v_mul_f64 v[144:145], v[144:145], v[138:139]
	v_fma_f64 v[181:182], v[146:147], v[136:137], v[144:145]
	s_waitcnt vmcnt(0) lgkmcnt(6)
	v_mul_f64 v[144:145], v[142:143], v[134:135]
	v_fma_f64 v[183:184], v[140:141], v[132:133], -v[144:145]
	v_mul_f64 v[140:141], v[140:141], v[134:135]
	v_fma_f64 v[187:188], v[142:143], v[132:133], v[140:141]
	v_lshlrev_b32_e32 v140, 5, v186
	v_add_co_u32_e64 v142, s[2:3], s14, v140
	v_addc_co_u32_e64 v143, s[2:3], 0, v178, s[2:3]
	v_add_co_u32_e64 v140, s[2:3], s15, v142
	v_addc_co_u32_e64 v141, s[2:3], 0, v143, s[2:3]
	v_add_co_u32_e64 v142, s[2:3], s16, v142
	v_addc_co_u32_e64 v143, s[2:3], 0, v143, s[2:3]
	global_load_dwordx4 v[144:147], v[142:143], off offset:3776
	s_nop 0
	global_load_dwordx4 v[140:143], v[140:141], off offset:16
	s_waitcnt vmcnt(1) lgkmcnt(4)
	v_mul_f64 v[185:186], v[154:155], v[146:147]
	v_fma_f64 v[185:186], v[152:153], v[144:145], -v[185:186]
	v_mul_f64 v[152:153], v[152:153], v[146:147]
	v_fma_f64 v[189:190], v[154:155], v[144:145], v[152:153]
	s_waitcnt vmcnt(0) lgkmcnt(3)
	v_mul_f64 v[152:153], v[150:151], v[142:143]
	v_fma_f64 v[196:197], v[148:149], v[140:141], -v[152:153]
	v_mul_f64 v[148:149], v[148:149], v[142:143]
	v_fma_f64 v[198:199], v[150:151], v[140:141], v[148:149]
	v_lshlrev_b32_e32 v148, 5, v194
	v_add_co_u32_e64 v150, s[2:3], s14, v148
	v_addc_co_u32_e64 v151, s[2:3], 0, v178, s[2:3]
	v_add_co_u32_e64 v148, s[2:3], s15, v150
	v_addc_co_u32_e64 v149, s[2:3], 0, v151, s[2:3]
	;; [unrolled: 2-line block ×3, first 2 shown]
	global_load_dwordx4 v[152:155], v[150:151], off offset:3776
	s_nop 0
	global_load_dwordx4 v[148:151], v[148:149], off offset:16
	s_movk_i32 s2, 0x5cd0
	s_waitcnt vmcnt(1) lgkmcnt(1)
	v_mul_f64 v[200:201], v[174:175], v[154:155]
	v_fma_f64 v[200:201], v[172:173], v[152:153], -v[200:201]
	v_mul_f64 v[172:173], v[172:173], v[154:155]
	v_fma_f64 v[202:203], v[174:175], v[152:153], v[172:173]
	s_waitcnt vmcnt(0) lgkmcnt(0)
	v_mul_f64 v[172:173], v[170:171], v[150:151]
	v_add_f64 v[174:175], v[181:182], v[187:188]
	v_fma_f64 v[204:205], v[168:169], v[148:149], -v[172:173]
	v_mul_f64 v[168:169], v[168:169], v[150:151]
	v_add_f64 v[172:173], v[181:182], -v[187:188]
	v_fma_f64 v[174:175], v[174:175], -0.5, v[166:167]
	v_fma_f64 v[206:207], v[170:171], v[148:149], v[168:169]
	v_add_f64 v[170:171], v[179:180], v[183:184]
	v_add_f64 v[168:169], v[164:165], v[179:180]
	v_add_f64 v[178:179], v[179:180], -v[183:184]
	v_fma_f64 v[170:171], v[170:171], -0.5, v[164:165]
	v_add_f64 v[168:169], v[168:169], v[183:184]
	v_fma_f64 v[164:165], v[172:173], s[6:7], v[170:171]
	v_fma_f64 v[172:173], v[172:173], s[12:13], v[170:171]
	v_add_f64 v[170:171], v[166:167], v[181:182]
	v_add_f64 v[180:181], v[185:186], v[196:197]
	v_fma_f64 v[166:167], v[178:179], s[12:13], v[174:175]
	v_fma_f64 v[174:175], v[178:179], s[6:7], v[174:175]
	v_add_f64 v[178:179], v[160:161], v[185:186]
	v_add_f64 v[182:183], v[189:190], -v[198:199]
	v_add_f64 v[184:185], v[185:186], -v[196:197]
	v_add_f64 v[170:171], v[170:171], v[187:188]
	v_add_f64 v[187:188], v[189:190], v[198:199]
	v_fma_f64 v[180:181], v[180:181], -0.5, v[160:161]
	v_add_f64 v[178:179], v[178:179], v[196:197]
	v_fma_f64 v[187:188], v[187:188], -0.5, v[162:163]
	v_fma_f64 v[160:161], v[182:183], s[6:7], v[180:181]
	v_fma_f64 v[182:183], v[182:183], s[12:13], v[180:181]
	v_add_f64 v[180:181], v[162:163], v[189:190]
	v_add_f64 v[190:191], v[202:203], -v[206:207]
	v_fma_f64 v[162:163], v[184:185], s[12:13], v[187:188]
	v_fma_f64 v[184:185], v[184:185], s[6:7], v[187:188]
	v_add_f64 v[188:189], v[200:201], v[204:205]
	v_add_f64 v[186:187], v[156:157], v[200:201]
	;; [unrolled: 1-line block ×3, first 2 shown]
	v_add_f64 v[198:199], v[200:201], -v[204:205]
	v_fma_f64 v[188:189], v[188:189], -0.5, v[156:157]
	v_add_f64 v[186:187], v[186:187], v[204:205]
	v_fma_f64 v[156:157], v[190:191], s[6:7], v[188:189]
	v_fma_f64 v[196:197], v[190:191], s[12:13], v[188:189]
	v_add_f64 v[190:191], v[202:203], v[206:207]
	v_add_f64 v[188:189], v[158:159], v[202:203]
	v_fma_f64 v[190:191], v[190:191], -0.5, v[158:159]
	v_add_f64 v[188:189], v[188:189], v[206:207]
	v_fma_f64 v[158:159], v[198:199], s[12:13], v[190:191]
	v_fma_f64 v[198:199], v[198:199], s[6:7], v[190:191]
	ds_write_b128 v255, v[168:171]
	ds_write_b128 v255, v[164:167] offset:7920
	ds_write_b128 v255, v[172:175] offset:15840
	ds_write_b128 v255, v[178:181] offset:2640
	ds_write_b128 v255, v[160:163] offset:10560
	ds_write_b128 v255, v[182:185] offset:18480
	ds_write_b128 v255, v[186:189] offset:5280
	ds_write_b128 v255, v[156:159] offset:13200
	ds_write_b128 v255, v[196:199] offset:21120
	v_add_co_u32_e64 v168, s[2:3], s2, v176
	v_addc_co_u32_e64 v169, s[2:3], 0, v177, s[2:3]
	s_movk_i32 s2, 0x5000
	v_add_co_u32_e64 v160, s[2:3], s2, v176
	v_addc_co_u32_e64 v161, s[2:3], 0, v177, s[2:3]
	s_waitcnt lgkmcnt(0)
	s_barrier
	global_load_dwordx4 v[160:163], v[160:161], off offset:3280
	ds_read_b128 v[156:159], v255
	s_movk_i32 s2, 0x7000
	v_add_co_u32_e64 v170, s[2:3], s2, v176
	v_addc_co_u32_e64 v171, s[2:3], 0, v177, s[2:3]
	s_mov_b32 s2, 0x9000
	v_add_co_u32_e64 v172, s[2:3], s2, v176
	v_addc_co_u32_e64 v173, s[2:3], 0, v177, s[2:3]
	s_mov_b32 s2, 0x8000
	s_waitcnt vmcnt(0) lgkmcnt(0)
	v_mul_f64 v[164:165], v[158:159], v[162:163]
	v_fma_f64 v[164:165], v[156:157], v[160:161], -v[164:165]
	v_mul_f64 v[156:157], v[156:157], v[162:163]
	v_fma_f64 v[166:167], v[158:159], v[160:161], v[156:157]
	global_load_dwordx4 v[160:163], v[170:171], off offset:3008
	ds_read_b128 v[156:159], v255 offset:7920
	ds_write_b128 v255, v[164:167]
	s_waitcnt vmcnt(0) lgkmcnt(1)
	v_mul_f64 v[164:165], v[158:159], v[162:163]
	v_fma_f64 v[164:165], v[156:157], v[160:161], -v[164:165]
	v_mul_f64 v[156:157], v[156:157], v[162:163]
	v_fma_f64 v[166:167], v[158:159], v[160:161], v[156:157]
	global_load_dwordx4 v[160:163], v[172:173], off offset:2736
	ds_read_b128 v[156:159], v255 offset:15840
	ds_write_b128 v255, v[164:167] offset:7920
	s_waitcnt vmcnt(0) lgkmcnt(1)
	v_mul_f64 v[164:165], v[158:159], v[162:163]
	v_fma_f64 v[164:165], v[156:157], v[160:161], -v[164:165]
	v_mul_f64 v[156:157], v[156:157], v[162:163]
	v_fma_f64 v[166:167], v[158:159], v[160:161], v[156:157]
	global_load_dwordx4 v[160:163], v[168:169], off offset:2640
	ds_read_b128 v[156:159], v255 offset:2640
	ds_write_b128 v255, v[164:167] offset:15840
	s_waitcnt vmcnt(0) lgkmcnt(1)
	v_mul_f64 v[164:165], v[158:159], v[162:163]
	v_fma_f64 v[164:165], v[156:157], v[160:161], -v[164:165]
	v_mul_f64 v[156:157], v[156:157], v[162:163]
	v_fma_f64 v[166:167], v[158:159], v[160:161], v[156:157]
	v_add_co_u32_e64 v160, s[2:3], s2, v176
	v_addc_co_u32_e64 v161, s[2:3], 0, v177, s[2:3]
	global_load_dwordx4 v[160:163], v[160:161], off offset:1552
	ds_read_b128 v[156:159], v255 offset:10560
	s_mov_b32 s2, 0xa000
	ds_write_b128 v255, v[164:167] offset:2640
	v_add_co_u32_e64 v168, s[2:3], s2, v176
	v_addc_co_u32_e64 v169, s[2:3], 0, v177, s[2:3]
	s_waitcnt vmcnt(0) lgkmcnt(1)
	v_mul_f64 v[164:165], v[158:159], v[162:163]
	v_fma_f64 v[164:165], v[156:157], v[160:161], -v[164:165]
	v_mul_f64 v[156:157], v[156:157], v[162:163]
	v_fma_f64 v[166:167], v[158:159], v[160:161], v[156:157]
	global_load_dwordx4 v[160:163], v[168:169], off offset:1280
	ds_read_b128 v[156:159], v255 offset:18480
	ds_write_b128 v255, v[164:167] offset:10560
	s_waitcnt vmcnt(0) lgkmcnt(1)
	v_mul_f64 v[164:165], v[158:159], v[162:163]
	v_fma_f64 v[164:165], v[156:157], v[160:161], -v[164:165]
	v_mul_f64 v[156:157], v[156:157], v[162:163]
	v_fma_f64 v[166:167], v[158:159], v[160:161], v[156:157]
	global_load_dwordx4 v[160:163], v[170:171], off offset:368
	ds_read_b128 v[156:159], v255 offset:5280
	ds_write_b128 v255, v[164:167] offset:18480
	;; [unrolled: 8-line block ×4, first 2 shown]
	s_waitcnt vmcnt(0) lgkmcnt(1)
	v_mul_f64 v[164:165], v[158:159], v[162:163]
	v_fma_f64 v[164:165], v[156:157], v[160:161], -v[164:165]
	v_mul_f64 v[156:157], v[156:157], v[162:163]
	v_fma_f64 v[166:167], v[158:159], v[160:161], v[156:157]
	ds_write_b128 v255, v[164:167] offset:21120
	s_waitcnt lgkmcnt(0)
	s_barrier
	ds_read_b128 v[156:159], v255
	ds_read_b128 v[160:163], v255 offset:7920
	ds_read_b128 v[164:167], v255 offset:15840
	;; [unrolled: 1-line block ×8, first 2 shown]
	s_waitcnt lgkmcnt(6)
	v_add_f64 v[198:199], v[160:161], v[164:165]
	v_add_f64 v[196:197], v[156:157], v[160:161]
	s_waitcnt lgkmcnt(0)
	s_barrier
	v_fma_f64 v[156:157], v[198:199], -0.5, v[156:157]
	v_add_f64 v[198:199], v[162:163], -v[166:167]
	v_add_f64 v[196:197], v[196:197], v[164:165]
	v_fma_f64 v[200:201], v[198:199], s[12:13], v[156:157]
	v_fma_f64 v[204:205], v[198:199], s[6:7], v[156:157]
	v_add_f64 v[156:157], v[158:159], v[162:163]
	v_add_f64 v[198:199], v[156:157], v[166:167]
	;; [unrolled: 1-line block ×4, first 2 shown]
	v_fma_f64 v[156:157], v[156:157], -0.5, v[158:159]
	v_add_f64 v[158:159], v[160:161], -v[164:165]
	v_fma_f64 v[162:163], v[162:163], -0.5, v[180:181]
	v_add_f64 v[160:161], v[172:173], -v[176:177]
	v_fma_f64 v[202:203], v[158:159], s[6:7], v[156:157]
	v_fma_f64 v[206:207], v[158:159], s[12:13], v[156:157]
	v_add_f64 v[156:157], v[168:169], v[172:173]
	v_add_f64 v[158:159], v[174:175], -v[178:179]
	v_add_f64 v[164:165], v[156:157], v[176:177]
	v_add_f64 v[156:157], v[172:173], v[176:177]
	v_add_f64 v[176:177], v[184:185], -v[188:189]
	v_fma_f64 v[156:157], v[156:157], -0.5, v[168:169]
	v_fma_f64 v[208:209], v[158:159], s[12:13], v[156:157]
	v_fma_f64 v[156:157], v[158:159], s[6:7], v[156:157]
	v_add_f64 v[158:159], v[170:171], v[174:175]
	v_add_f64 v[166:167], v[158:159], v[178:179]
	;; [unrolled: 1-line block ×3, first 2 shown]
	v_fma_f64 v[158:159], v[158:159], -0.5, v[170:171]
	v_add_f64 v[170:171], v[186:187], -v[190:191]
	v_fma_f64 v[210:211], v[160:161], s[6:7], v[158:159]
	v_fma_f64 v[168:169], v[170:171], s[12:13], v[162:163]
	;; [unrolled: 1-line block ×3, first 2 shown]
	v_add_f64 v[170:171], v[186:187], v[190:191]
	v_fma_f64 v[158:159], v[160:161], s[12:13], v[158:159]
	v_add_f64 v[160:161], v[180:181], v[184:185]
	v_add_f64 v[162:163], v[182:183], v[186:187]
	v_fma_f64 v[174:175], v[170:171], -0.5, v[182:183]
	v_add_f64 v[160:161], v[160:161], v[188:189]
	v_add_f64 v[162:163], v[162:163], v[190:191]
	v_fma_f64 v[170:171], v[176:177], s[6:7], v[174:175]
	v_fma_f64 v[174:175], v[176:177], s[12:13], v[174:175]
	buffer_load_dword v176, off, s[48:51], 0 offset:16 ; 4-byte Folded Reload
	s_waitcnt vmcnt(0)
	ds_write_b128 v176, v[196:199]
	ds_write_b128 v176, v[200:203] offset:16
	ds_write_b128 v176, v[204:207] offset:32
	buffer_load_dword v176, off, s[48:51], 0 offset:20 ; 4-byte Folded Reload
	s_waitcnt vmcnt(0)
	ds_write_b128 v176, v[164:167]
	ds_write_b128 v176, v[208:211] offset:16
	ds_write_b128 v176, v[156:159] offset:32
	;; [unrolled: 5-line block ×3, first 2 shown]
	s_waitcnt lgkmcnt(0)
	s_barrier
	ds_read_b128 v[164:167], v255
	ds_read_b128 v[188:191], v255 offset:4752
	ds_read_b128 v[184:187], v255 offset:9504
	;; [unrolled: 1-line block ×4, first 2 shown]
	s_and_saveexec_b64 s[2:3], vcc
	s_cbranch_execz .LBB0_11
; %bb.10:
	ds_read_b128 v[156:159], v255 offset:2640
	ds_read_b128 v[160:163], v255 offset:7392
	;; [unrolled: 1-line block ×5, first 2 shown]
.LBB0_11:
	s_or_b64 exec, exec, s[2:3]
	s_waitcnt lgkmcnt(3)
	v_mul_f64 v[196:197], v[58:59], v[190:191]
	v_mul_f64 v[58:59], v[58:59], v[188:189]
	s_waitcnt lgkmcnt(2)
	v_mul_f64 v[198:199], v[54:55], v[186:187]
	s_waitcnt lgkmcnt(1)
	v_mul_f64 v[200:201], v[50:51], v[182:183]
	v_mul_f64 v[54:55], v[54:55], v[184:185]
	;; [unrolled: 1-line block ×3, first 2 shown]
	s_waitcnt lgkmcnt(0)
	v_mul_f64 v[202:203], v[38:39], v[178:179]
	v_mul_f64 v[38:39], v[38:39], v[176:177]
	v_fma_f64 v[188:189], v[56:57], v[188:189], v[196:197]
	v_fma_f64 v[58:59], v[56:57], v[190:191], -v[58:59]
	v_fma_f64 v[56:57], v[52:53], v[184:185], v[198:199]
	v_fma_f64 v[180:181], v[48:49], v[180:181], v[200:201]
	v_fma_f64 v[54:55], v[52:53], v[186:187], -v[54:55]
	v_fma_f64 v[50:51], v[48:49], v[182:183], -v[50:51]
	v_mul_f64 v[48:49], v[74:75], v[162:163]
	v_fma_f64 v[52:53], v[36:37], v[176:177], v[202:203]
	v_fma_f64 v[176:177], v[36:37], v[178:179], -v[38:39]
	v_mul_f64 v[38:39], v[70:71], v[170:171]
	v_mul_f64 v[70:71], v[70:71], v[168:169]
	v_add_f64 v[178:179], v[56:57], v[180:181]
	v_mul_f64 v[36:37], v[74:75], v[160:161]
	v_add_f64 v[74:75], v[164:165], v[188:189]
	v_fma_f64 v[160:161], v[72:73], v[160:161], v[48:49]
	v_mul_f64 v[48:49], v[66:67], v[174:175]
	v_mul_f64 v[66:67], v[66:67], v[172:173]
	v_fma_f64 v[168:169], v[68:69], v[168:169], v[38:39]
	v_fma_f64 v[68:69], v[68:69], v[170:171], -v[70:71]
	v_fma_f64 v[38:39], v[178:179], -0.5, v[164:165]
	v_add_f64 v[70:71], v[58:59], -v[176:177]
	s_mov_b32 s2, 0x134454ff
	s_mov_b32 s3, 0xbfee6f0e
	v_fma_f64 v[162:163], v[72:73], v[162:163], -v[36:37]
	v_add_f64 v[36:37], v[74:75], v[56:57]
	v_fma_f64 v[74:75], v[64:65], v[172:173], v[48:49]
	v_fma_f64 v[66:67], v[64:65], v[174:175], -v[66:67]
	v_mul_f64 v[48:49], v[46:47], v[114:115]
	v_mul_f64 v[46:47], v[46:47], v[112:113]
	v_fma_f64 v[64:65], v[70:71], s[2:3], v[38:39]
	v_add_f64 v[72:73], v[54:55], -v[50:51]
	v_add_f64 v[174:175], v[188:189], v[52:53]
	s_mov_b32 s12, 0x4755a5e
	s_mov_b32 s13, 0xbfe2cf23
	s_mov_b32 s17, 0x3fee6f0e
	s_mov_b32 s16, s2
	v_add_f64 v[170:171], v[188:189], -v[56:57]
	v_add_f64 v[172:173], v[52:53], -v[180:181]
	v_fma_f64 v[112:113], v[44:45], v[112:113], v[48:49]
	v_fma_f64 v[114:115], v[44:45], v[114:115], -v[46:47]
	v_fma_f64 v[44:45], v[72:73], s[12:13], v[64:65]
	v_fma_f64 v[48:49], v[174:175], -0.5, v[164:165]
	v_fma_f64 v[38:39], v[70:71], s[16:17], v[38:39]
	v_add_f64 v[64:65], v[166:167], v[58:59]
	s_mov_b32 s15, 0x3fe2cf23
	s_mov_b32 s14, s12
	v_add_f64 v[36:37], v[36:37], v[180:181]
	v_add_f64 v[46:47], v[170:171], v[172:173]
	;; [unrolled: 1-line block ×3, first 2 shown]
	v_fma_f64 v[170:171], v[72:73], s[16:17], v[48:49]
	v_add_f64 v[172:173], v[56:57], -v[188:189]
	v_add_f64 v[174:175], v[180:181], -v[52:53]
	v_fma_f64 v[38:39], v[72:73], s[14:15], v[38:39]
	v_add_f64 v[64:65], v[64:65], v[54:55]
	s_mov_b32 s6, 0x372fe950
	s_mov_b32 s7, 0x3fd3c6ef
	v_add_f64 v[36:37], v[36:37], v[52:53]
	v_fma_f64 v[48:49], v[72:73], s[2:3], v[48:49]
	v_fma_f64 v[72:73], v[164:165], -0.5, v[166:167]
	v_add_f64 v[164:165], v[188:189], -v[52:53]
	v_fma_f64 v[170:171], v[70:71], s[12:13], v[170:171]
	v_add_f64 v[172:173], v[172:173], v[174:175]
	v_fma_f64 v[44:45], v[46:47], s[6:7], v[44:45]
	v_fma_f64 v[52:53], v[46:47], s[6:7], v[38:39]
	v_add_f64 v[46:47], v[64:65], v[50:51]
	v_add_f64 v[64:65], v[58:59], v[176:177]
	v_fma_f64 v[38:39], v[70:71], s[14:15], v[48:49]
	v_fma_f64 v[70:71], v[164:165], s[16:17], v[72:73]
	v_add_f64 v[174:175], v[56:57], -v[180:181]
	v_fma_f64 v[48:49], v[172:173], s[6:7], v[170:171]
	v_add_f64 v[170:171], v[168:169], v[74:75]
	v_add_f64 v[178:179], v[58:59], -v[54:55]
	v_add_f64 v[180:181], v[176:177], -v[50:51]
	v_fma_f64 v[64:65], v[64:65], -0.5, v[166:167]
	v_fma_f64 v[56:57], v[172:173], s[6:7], v[38:39]
	v_add_f64 v[38:39], v[46:47], v[176:177]
	v_fma_f64 v[46:47], v[174:175], s[14:15], v[70:71]
	v_add_f64 v[70:71], v[156:157], v[160:161]
	v_fma_f64 v[166:167], v[170:171], -0.5, v[156:157]
	v_add_f64 v[170:171], v[162:163], -v[114:115]
	v_add_f64 v[172:173], v[178:179], v[180:181]
	v_fma_f64 v[72:73], v[164:165], s[2:3], v[72:73]
	v_fma_f64 v[178:179], v[174:175], s[2:3], v[64:65]
	v_add_f64 v[54:55], v[54:55], -v[58:59]
	v_add_f64 v[50:51], v[50:51], -v[176:177]
	v_fma_f64 v[58:59], v[174:175], s[16:17], v[64:65]
	v_add_f64 v[64:65], v[70:71], v[168:169]
	v_fma_f64 v[70:71], v[170:171], s[2:3], v[166:167]
	v_add_f64 v[176:177], v[68:69], -v[66:67]
	v_add_f64 v[180:181], v[160:161], -v[168:169]
	;; [unrolled: 1-line block ×3, first 2 shown]
	v_fma_f64 v[72:73], v[174:175], s[12:13], v[72:73]
	v_add_f64 v[174:175], v[160:161], v[112:113]
	v_fma_f64 v[178:179], v[164:165], s[14:15], v[178:179]
	v_add_f64 v[184:185], v[54:55], v[50:51]
	;; [unrolled: 2-line block ×4, first 2 shown]
	v_fma_f64 v[46:47], v[172:173], s[6:7], v[46:47]
	v_fma_f64 v[156:157], v[174:175], -0.5, v[156:157]
	v_fma_f64 v[54:55], v[172:173], s[6:7], v[72:73]
	v_fma_f64 v[50:51], v[184:185], s[6:7], v[178:179]
	v_add_f64 v[172:173], v[68:69], v[66:67]
	v_add_f64 v[178:179], v[162:163], v[114:115]
	v_add_f64 v[64:65], v[64:65], v[112:113]
	v_fma_f64 v[72:73], v[164:165], s[6:7], v[70:71]
	v_fma_f64 v[70:71], v[170:171], s[16:17], v[166:167]
	;; [unrolled: 1-line block ×3, first 2 shown]
	v_add_f64 v[174:175], v[168:169], -v[160:161]
	v_add_f64 v[180:181], v[74:75], -v[112:113]
	v_add_f64 v[182:183], v[158:159], v[162:163]
	v_fma_f64 v[172:173], v[172:173], -0.5, v[158:159]
	v_add_f64 v[112:113], v[160:161], -v[112:113]
	v_add_f64 v[74:75], v[168:169], -v[74:75]
	v_fma_f64 v[158:159], v[178:179], -0.5, v[158:159]
	v_fma_f64 v[70:71], v[176:177], s[14:15], v[70:71]
	v_fma_f64 v[160:161], v[170:171], s[12:13], v[166:167]
	v_add_f64 v[166:167], v[174:175], v[180:181]
	v_fma_f64 v[156:157], v[176:177], s[2:3], v[156:157]
	v_add_f64 v[168:169], v[182:183], v[68:69]
	v_fma_f64 v[174:175], v[112:113], s[16:17], v[172:173]
	v_add_f64 v[176:177], v[162:163], -v[68:69]
	v_add_f64 v[178:179], v[114:115], -v[66:67]
	v_fma_f64 v[172:173], v[112:113], s[2:3], v[172:173]
	v_fma_f64 v[180:181], v[74:75], s[2:3], v[158:159]
	v_add_f64 v[68:69], v[68:69], -v[162:163]
	v_add_f64 v[162:163], v[66:67], -v[114:115]
	v_fma_f64 v[158:159], v[74:75], s[16:17], v[158:159]
	v_fma_f64 v[170:171], v[170:171], s[14:15], v[156:157]
	v_add_f64 v[66:67], v[168:169], v[66:67]
	v_fma_f64 v[168:169], v[74:75], s[14:15], v[174:175]
	v_add_f64 v[174:175], v[176:177], v[178:179]
	v_fma_f64 v[172:173], v[74:75], s[12:13], v[172:173]
	v_fma_f64 v[176:177], v[112:113], s[14:15], v[180:181]
	v_add_f64 v[162:163], v[68:69], v[162:163]
	v_fma_f64 v[178:179], v[112:113], s[12:13], v[158:159]
	v_fma_f64 v[58:59], v[184:185], s[6:7], v[58:59]
	;; [unrolled: 1-line block ×5, first 2 shown]
	v_add_f64 v[66:67], v[66:67], v[114:115]
	v_fma_f64 v[74:75], v[174:175], s[6:7], v[168:169]
	v_fma_f64 v[70:71], v[174:175], s[6:7], v[172:173]
	;; [unrolled: 1-line block ×4, first 2 shown]
	s_barrier
	ds_write_b128 v193, v[36:39]
	ds_write_b128 v193, v[44:47] offset:48
	ds_write_b128 v193, v[48:51] offset:96
	;; [unrolled: 1-line block ×4, first 2 shown]
	s_and_saveexec_b64 s[2:3], vcc
	s_cbranch_execz .LBB0_13
; %bb.12:
	buffer_load_dword v160, off, s[48:51], 0 offset:28 ; 4-byte Folded Reload
	s_waitcnt vmcnt(0)
	v_lshlrev_b32_e32 v160, 4, v160
	ds_write_b128 v160, v[64:67]
	ds_write_b128 v160, v[72:75] offset:48
	ds_write_b128 v160, v[156:159] offset:96
	;; [unrolled: 1-line block ×4, first 2 shown]
.LBB0_13:
	s_or_b64 exec, exec, s[2:3]
	s_waitcnt lgkmcnt(0)
	s_barrier
	s_and_saveexec_b64 s[2:3], s[0:1]
	s_cbranch_execz .LBB0_15
; %bb.14:
	ds_read_b128 v[36:39], v255
	ds_read_b128 v[44:47], v255 offset:2160
	ds_read_b128 v[48:51], v255 offset:4320
	;; [unrolled: 1-line block ×10, first 2 shown]
.LBB0_15:
	s_or_b64 exec, exec, s[2:3]
	s_waitcnt lgkmcnt(0)
	s_barrier
	s_and_saveexec_b64 s[2:3], s[0:1]
	s_cbranch_execz .LBB0_17
; %bb.16:
	v_mul_f64 v[160:161], v[102:103], v[66:67]
	v_mul_f64 v[162:163], v[94:95], v[74:75]
	v_mul_f64 v[102:103], v[102:103], v[64:65]
	v_mul_f64 v[164:165], v[94:95], v[72:73]
	v_mul_f64 v[94:95], v[82:83], v[54:55]
	v_mul_f64 v[166:167], v[90:91], v[158:159]
	v_mul_f64 v[168:169], v[82:83], v[52:53]
	s_mov_b32 s20, 0xfd768dbf
	v_fma_f64 v[82:83], v[100:101], v[64:65], v[160:161]
	v_fma_f64 v[64:65], v[92:93], v[72:73], v[162:163]
	v_mul_f64 v[72:73], v[90:91], v[156:157]
	v_mul_f64 v[160:161], v[78:79], v[58:59]
	;; [unrolled: 1-line block ×3, first 2 shown]
	v_fma_f64 v[90:91], v[100:101], v[66:67], -v[102:103]
	v_mul_f64 v[78:79], v[78:79], v[56:57]
	v_mul_f64 v[102:103], v[86:87], v[112:113]
	v_fma_f64 v[94:95], v[80:81], v[52:53], v[94:95]
	v_fma_f64 v[66:67], v[88:89], v[156:157], v[166:167]
	v_fma_f64 v[80:81], v[80:81], v[54:55], -v[168:169]
	v_fma_f64 v[72:73], v[88:89], v[158:159], -v[72:73]
	v_fma_f64 v[88:89], v[76:77], v[56:57], v[160:161]
	v_fma_f64 v[54:55], v[84:85], v[112:113], v[162:163]
	v_fma_f64 v[78:79], v[76:77], v[58:59], -v[78:79]
	v_fma_f64 v[58:59], v[84:85], v[114:115], -v[102:103]
	v_mul_f64 v[76:77], v[42:43], v[50:51]
	v_mul_f64 v[114:115], v[106:107], v[70:71]
	;; [unrolled: 1-line block ×6, first 2 shown]
	s_mov_b32 s21, 0xbfd207e7
	v_fma_f64 v[74:75], v[92:93], v[74:75], -v[164:165]
	v_fma_f64 v[102:103], v[40:41], v[48:49], v[76:77]
	v_fma_f64 v[76:77], v[104:105], v[68:69], v[114:115]
	v_mul_f64 v[48:49], v[42:43], v[48:49]
	v_fma_f64 v[160:161], v[60:61], v[44:45], v[160:161]
	v_fma_f64 v[42:43], v[96:97], v[108:109], v[162:163]
	v_mul_f64 v[68:69], v[106:107], v[68:69]
	v_fma_f64 v[162:163], v[60:61], v[46:47], -v[62:63]
	v_fma_f64 v[44:45], v[96:97], v[110:111], -v[98:99]
	s_mov_b32 s26, 0xf8bb580b
	v_add_f64 v[164:165], v[102:103], -v[76:77]
	v_fma_f64 v[50:51], v[40:41], v[50:51], -v[48:49]
	s_mov_b32 s18, 0x9bcd5057
	v_add_f64 v[166:167], v[160:161], -v[42:43]
	v_fma_f64 v[40:41], v[104:105], v[70:71], -v[68:69]
	v_add_f64 v[176:177], v[160:161], v[42:43]
	v_add_f64 v[168:169], v[162:163], -v[44:45]
	v_add_f64 v[170:171], v[162:163], v[44:45]
	s_mov_b32 s27, 0x3fe14ced
	s_mov_b32 s19, 0xbfeeb42a
	v_add_f64 v[86:87], v[88:89], -v[54:55]
	v_mul_f64 v[48:49], v[166:167], s[20:21]
	v_add_f64 v[174:175], v[50:51], -v[40:41]
	v_mul_f64 v[60:61], v[164:165], s[26:27]
	v_mul_f64 v[62:63], v[168:169], s[20:21]
	v_add_f64 v[172:173], v[50:51], v[40:41]
	v_add_f64 v[178:179], v[78:79], -v[58:59]
	v_add_f64 v[180:181], v[102:103], v[76:77]
	s_mov_b32 s14, 0xbb3a28a1
	v_fma_f64 v[68:69], v[170:171], s[18:19], v[48:49]
	v_mul_f64 v[70:71], v[174:175], s[26:27]
	v_fma_f64 v[48:49], v[170:171], s[18:19], -v[48:49]
	v_fma_f64 v[96:97], v[176:177], s[18:19], -v[62:63]
	s_mov_b32 s22, 0x8764f0ba
	s_mov_b32 s15, 0xbfe82f19
	;; [unrolled: 1-line block ×3, first 2 shown]
	v_add_f64 v[100:101], v[94:95], -v[66:67]
	v_mul_f64 v[158:159], v[86:87], s[14:15]
	v_add_f64 v[84:85], v[78:79], v[58:59]
	v_fma_f64 v[98:99], v[172:173], s[22:23], v[60:61]
	v_add_f64 v[184:185], v[88:89], v[54:55]
	v_mul_f64 v[104:105], v[178:179], s[14:15]
	v_fma_f64 v[106:107], v[180:181], s[22:23], -v[70:71]
	v_add_f64 v[96:97], v[36:37], v[96:97]
	v_fma_f64 v[60:61], v[172:173], s[22:23], -v[60:61]
	v_add_f64 v[48:49], v[38:39], v[48:49]
	s_mov_b32 s16, 0x7f775887
	s_mov_b32 s7, 0x3fed1bb4
	;; [unrolled: 1-line block ×4, first 2 shown]
	v_mul_f64 v[112:113], v[100:101], s[6:7]
	v_add_f64 v[56:57], v[80:81], v[72:73]
	v_add_f64 v[68:69], v[38:39], v[68:69]
	v_add_f64 v[182:183], v[80:81], -v[72:73]
	v_fma_f64 v[108:109], v[184:185], s[16:17], -v[104:105]
	v_add_f64 v[96:97], v[106:107], v[96:97]
	v_fma_f64 v[106:107], v[84:85], s[16:17], -v[158:159]
	v_add_f64 v[48:49], v[60:61], v[48:49]
	s_mov_b32 s12, 0xd9c712b6
	s_mov_b32 s13, 0x3fda9628
	v_add_f64 v[92:93], v[82:83], -v[64:65]
	v_add_f64 v[68:69], v[98:99], v[68:69]
	v_add_f64 v[188:189], v[94:95], v[66:67]
	v_mul_f64 v[98:99], v[182:183], s[6:7]
	v_add_f64 v[96:97], v[108:109], v[96:97]
	v_fma_f64 v[108:109], v[56:57], s[12:13], -v[112:113]
	v_add_f64 v[48:49], v[106:107], v[48:49]
	v_fma_f64 v[62:63], v[176:177], s[18:19], v[62:63]
	s_mov_b32 s0, 0x43842ef
	s_mov_b32 s1, 0xbfefac9e
	v_mul_f64 v[156:157], v[92:93], s[0:1]
	v_add_f64 v[52:53], v[90:91], v[74:75]
	v_fma_f64 v[60:61], v[56:57], s[12:13], v[112:113]
	v_fma_f64 v[110:111], v[188:189], s[12:13], -v[98:99]
	v_add_f64 v[108:109], v[108:109], v[48:49]
	v_fma_f64 v[48:49], v[180:181], s[22:23], v[70:71]
	v_mul_f64 v[70:71], v[166:167], s[14:15]
	v_add_f64 v[62:63], v[36:37], v[62:63]
	v_mul_f64 v[112:113], v[168:169], s[14:15]
	s_mov_b32 s24, 0x640f44db
	s_mov_b32 s25, 0xbfc2375f
	;; [unrolled: 1-line block ×4, first 2 shown]
	v_fma_f64 v[46:47], v[84:85], s[16:17], v[158:159]
	v_fma_f64 v[106:107], v[52:53], s[24:25], v[156:157]
	v_add_f64 v[96:97], v[110:111], v[96:97]
	v_fma_f64 v[110:111], v[52:53], s[24:25], -v[156:157]
	v_mul_f64 v[114:115], v[164:165], s[30:31]
	v_fma_f64 v[156:157], v[170:171], s[16:17], v[70:71]
	v_add_f64 v[48:49], v[48:49], v[62:63]
	v_mul_f64 v[190:191], v[174:175], s[30:31]
	v_fma_f64 v[62:63], v[176:177], s[16:17], -v[112:113]
	v_fma_f64 v[70:71], v[170:171], s[16:17], -v[70:71]
	s_mov_b32 s29, 0xbfe14ced
	s_mov_b32 s28, s26
	v_add_f64 v[186:187], v[90:91], -v[74:75]
	v_add_f64 v[46:47], v[46:47], v[68:69]
	v_fma_f64 v[104:105], v[184:185], s[16:17], v[104:105]
	v_mul_f64 v[193:194], v[86:87], s[28:29]
	v_fma_f64 v[196:197], v[172:173], s[24:25], v[114:115]
	v_add_f64 v[156:157], v[38:39], v[156:157]
	v_mul_f64 v[198:199], v[178:179], s[28:29]
	v_fma_f64 v[200:201], v[180:181], s[24:25], -v[190:191]
	v_add_f64 v[62:63], v[36:37], v[62:63]
	v_fma_f64 v[114:115], v[172:173], s[24:25], -v[114:115]
	v_add_f64 v[70:71], v[38:39], v[70:71]
	v_add_f64 v[158:159], v[82:83], v[64:65]
	v_mul_f64 v[68:69], v[186:187], s[0:1]
	v_add_f64 v[46:47], v[60:61], v[46:47]
	v_fma_f64 v[98:99], v[188:189], s[12:13], v[98:99]
	v_add_f64 v[48:49], v[104:105], v[48:49]
	v_mul_f64 v[104:105], v[100:101], s[20:21]
	v_fma_f64 v[202:203], v[84:85], s[22:23], v[193:194]
	v_add_f64 v[156:157], v[196:197], v[156:157]
	v_mul_f64 v[196:197], v[182:183], s[20:21]
	v_fma_f64 v[204:205], v[184:185], s[22:23], -v[198:199]
	v_add_f64 v[62:63], v[200:201], v[62:63]
	v_fma_f64 v[193:194], v[84:85], s[22:23], -v[193:194]
	v_add_f64 v[70:71], v[114:115], v[70:71]
	v_fma_f64 v[60:61], v[158:159], s[24:25], -v[68:69]
	v_mul_f64 v[200:201], v[92:93], s[6:7]
	v_fma_f64 v[206:207], v[56:57], s[18:19], v[104:105]
	v_add_f64 v[156:157], v[202:203], v[156:157]
	v_fma_f64 v[208:209], v[188:189], s[18:19], -v[196:197]
	v_add_f64 v[62:63], v[204:205], v[62:63]
	v_add_f64 v[98:99], v[98:99], v[48:49]
	v_add_f64 v[48:49], v[106:107], v[46:47]
	v_fma_f64 v[104:105], v[56:57], s[18:19], -v[104:105]
	v_add_f64 v[106:107], v[193:194], v[70:71]
	v_add_f64 v[162:163], v[38:39], v[162:163]
	v_mul_f64 v[202:203], v[186:187], s[6:7]
	v_fma_f64 v[114:115], v[52:53], s[12:13], v[200:201]
	v_add_f64 v[156:157], v[206:207], v[156:157]
	v_add_f64 v[206:207], v[208:209], v[62:63]
	v_add_f64 v[46:47], v[60:61], v[96:97]
	v_add_f64 v[62:63], v[110:111], v[108:109]
	v_mul_f64 v[96:97], v[166:167], s[0:1]
	v_add_f64 v[104:105], v[104:105], v[106:107]
	v_fma_f64 v[106:107], v[176:177], s[16:17], v[112:113]
	v_mul_f64 v[108:109], v[168:169], s[0:1]
	v_add_f64 v[50:51], v[162:163], v[50:51]
	s_mov_b32 s35, 0x3fd207e7
	s_mov_b32 s34, s20
	v_fma_f64 v[68:69], v[158:159], s[24:25], v[68:69]
	v_fma_f64 v[204:205], v[158:159], s[12:13], -v[202:203]
	v_add_f64 v[70:71], v[114:115], v[156:157]
	v_mul_f64 v[110:111], v[164:165], s[34:35]
	v_fma_f64 v[112:113], v[170:171], s[24:25], v[96:97]
	v_fma_f64 v[156:157], v[180:181], s[24:25], v[190:191]
	v_mul_f64 v[190:191], v[174:175], s[34:35]
	v_fma_f64 v[193:194], v[176:177], s[24:25], -v[108:109]
	v_add_f64 v[106:107], v[36:37], v[106:107]
	v_add_f64 v[50:51], v[50:51], v[78:79]
	;; [unrolled: 1-line block ×4, first 2 shown]
	v_fma_f64 v[98:99], v[52:53], s[12:13], -v[200:201]
	v_fma_f64 v[114:115], v[158:159], s[12:13], v[202:203]
	v_mul_f64 v[200:201], v[86:87], s[6:7]
	v_fma_f64 v[202:203], v[172:173], s[18:19], v[110:111]
	v_add_f64 v[112:113], v[38:39], v[112:113]
	v_fma_f64 v[198:199], v[184:185], s[22:23], v[198:199]
	v_mul_f64 v[204:205], v[178:179], s[6:7]
	v_fma_f64 v[206:207], v[180:181], s[18:19], -v[190:191]
	v_add_f64 v[193:194], v[36:37], v[193:194]
	v_add_f64 v[106:107], v[156:157], v[106:107]
	;; [unrolled: 1-line block ×3, first 2 shown]
	v_mul_f64 v[156:157], v[100:101], s[28:29]
	v_fma_f64 v[208:209], v[84:85], s[12:13], v[200:201]
	v_add_f64 v[112:113], v[202:203], v[112:113]
	v_fma_f64 v[196:197], v[188:189], s[18:19], v[196:197]
	v_mul_f64 v[202:203], v[182:183], s[28:29]
	v_fma_f64 v[210:211], v[184:185], s[12:13], -v[204:205]
	v_add_f64 v[193:194], v[206:207], v[193:194]
	v_add_f64 v[106:107], v[198:199], v[106:107]
	;; [unrolled: 1-line block ×3, first 2 shown]
	v_mul_f64 v[198:199], v[92:93], s[14:15]
	v_fma_f64 v[206:207], v[56:57], s[22:23], v[156:157]
	v_add_f64 v[112:113], v[208:209], v[112:113]
	v_mul_f64 v[208:209], v[186:187], s[14:15]
	v_fma_f64 v[96:97], v[170:171], s[24:25], -v[96:97]
	v_fma_f64 v[212:213], v[188:189], s[22:23], -v[202:203]
	v_add_f64 v[193:194], v[210:211], v[193:194]
	v_add_f64 v[106:107], v[196:197], v[106:107]
	;; [unrolled: 1-line block ×3, first 2 shown]
	s_mov_b32 s7, 0xbfed1bb4
	v_add_f64 v[98:99], v[98:99], v[104:105]
	v_fma_f64 v[104:105], v[52:53], s[16:17], v[198:199]
	v_add_f64 v[112:113], v[206:207], v[112:113]
	v_fma_f64 v[110:111], v[172:173], s[18:19], -v[110:111]
	v_add_f64 v[196:197], v[38:39], v[96:97]
	v_fma_f64 v[206:207], v[158:159], s[16:17], -v[208:209]
	v_add_f64 v[193:194], v[212:213], v[193:194]
	v_add_f64 v[96:97], v[114:115], v[106:107]
	v_mul_f64 v[114:115], v[166:167], s[6:7]
	v_add_f64 v[50:51], v[50:51], v[72:73]
	v_fma_f64 v[200:201], v[84:85], s[12:13], -v[200:201]
	v_fma_f64 v[108:109], v[176:177], s[24:25], v[108:109]
	v_add_f64 v[110:111], v[110:111], v[196:197]
	v_add_f64 v[106:107], v[104:105], v[112:113]
	;; [unrolled: 1-line block ×3, first 2 shown]
	v_fma_f64 v[112:113], v[56:57], s[22:23], -v[156:157]
	v_mul_f64 v[156:157], v[164:165], s[14:15]
	v_fma_f64 v[193:194], v[170:171], s[12:13], v[114:115]
	v_add_f64 v[50:51], v[50:51], v[58:59]
	v_fma_f64 v[190:191], v[180:181], s[18:19], v[190:191]
	v_add_f64 v[108:109], v[36:37], v[108:109]
	v_add_f64 v[110:111], v[200:201], v[110:111]
	v_mul_f64 v[200:201], v[86:87], s[34:35]
	v_fma_f64 v[204:205], v[184:185], s[12:13], v[204:205]
	v_fma_f64 v[206:207], v[172:173], s[16:17], v[156:157]
	v_add_f64 v[193:194], v[38:39], v[193:194]
	v_add_f64 v[40:41], v[50:51], v[40:41]
	v_mul_f64 v[210:211], v[100:101], s[30:31]
	v_add_f64 v[108:109], v[190:191], v[108:109]
	v_add_f64 v[160:161], v[36:37], v[160:161]
	v_fma_f64 v[212:213], v[84:85], s[18:19], v[200:201]
	v_fma_f64 v[202:203], v[188:189], s[22:23], v[202:203]
	v_mul_f64 v[214:215], v[92:93], s[26:27]
	v_add_f64 v[193:194], v[206:207], v[193:194]
	v_add_f64 v[44:45], v[40:41], v[44:45]
	buffer_load_dword v40, off, s[48:51], 0 offset:8 ; 4-byte Folded Reload
	buffer_load_dword v41, off, s[48:51], 0 offset:12 ; 4-byte Folded Reload
	v_add_f64 v[108:109], v[204:205], v[108:109]
	v_fma_f64 v[216:217], v[56:57], s[24:25], v[210:211]
	v_fma_f64 v[114:115], v[170:171], s[12:13], -v[114:115]
	v_add_f64 v[102:103], v[160:161], v[102:103]
	v_add_f64 v[193:194], v[212:213], v[193:194]
	v_fma_f64 v[196:197], v[52:53], s[16:17], -v[198:199]
	v_mul_f64 v[198:199], v[168:169], s[6:7]
	v_fma_f64 v[156:157], v[172:173], s[16:17], -v[156:157]
	v_add_f64 v[108:109], v[202:203], v[108:109]
	v_fma_f64 v[202:203], v[52:53], s[22:23], v[214:215]
	v_add_f64 v[114:115], v[38:39], v[114:115]
	v_mul_f64 v[166:167], v[166:167], s[28:29]
	v_add_f64 v[193:194], v[216:217], v[193:194]
	v_add_f64 v[78:79], v[102:103], v[88:89]
	;; [unrolled: 1-line block ×3, first 2 shown]
	v_mul_f64 v[112:113], v[174:175], s[14:15]
	v_fma_f64 v[190:191], v[176:177], s[12:13], -v[198:199]
	v_fma_f64 v[198:199], v[176:177], s[12:13], v[198:199]
	v_add_f64 v[156:157], v[156:157], v[114:115]
	v_mul_f64 v[164:165], v[164:165], s[6:7]
	v_add_f64 v[114:115], v[202:203], v[193:194]
	v_fma_f64 v[202:203], v[170:171], s[22:23], v[166:167]
	v_add_f64 v[78:79], v[78:79], v[94:95]
	v_fma_f64 v[206:207], v[180:181], s[16:17], -v[112:113]
	v_fma_f64 v[112:113], v[180:181], s[16:17], v[112:113]
	v_add_f64 v[198:199], v[36:37], v[198:199]
	v_mul_f64 v[80:81], v[168:169], s[28:29]
	v_fma_f64 v[160:161], v[172:173], s[12:13], v[164:165]
	v_mul_f64 v[90:91], v[178:179], s[0:1]
	v_add_f64 v[162:163], v[38:39], v[202:203]
	v_add_f64 v[78:79], v[78:79], v[82:83]
	v_fma_f64 v[164:165], v[172:173], s[12:13], -v[164:165]
	v_mul_f64 v[204:205], v[178:179], s[34:35]
	v_add_f64 v[112:113], v[112:113], v[198:199]
	v_mul_f64 v[198:199], v[86:87], s[0:1]
	v_fma_f64 v[82:83], v[176:177], s[22:23], v[80:81]
	v_fma_f64 v[80:81], v[176:177], s[22:23], -v[80:81]
	v_add_f64 v[102:103], v[160:161], v[162:163]
	v_fma_f64 v[162:163], v[170:171], s[22:23], -v[166:167]
	v_mul_f64 v[166:167], v[174:175], s[6:7]
	v_add_f64 v[64:65], v[78:79], v[64:65]
	v_add_f64 v[110:111], v[196:197], v[110:111]
	v_fma_f64 v[88:89], v[84:85], s[24:25], v[198:199]
	v_add_f64 v[74:75], v[36:37], v[82:83]
	v_fma_f64 v[196:197], v[84:85], s[18:19], -v[200:201]
	v_add_f64 v[190:191], v[36:37], v[190:191]
	v_add_f64 v[38:39], v[38:39], v[162:163]
	v_fma_f64 v[162:163], v[180:181], s[12:13], v[166:167]
	v_fma_f64 v[78:79], v[180:181], s[12:13], -v[166:167]
	v_add_f64 v[36:37], v[36:37], v[80:81]
	v_add_f64 v[64:65], v[64:65], v[66:67]
	v_mul_f64 v[100:101], v[100:101], s[14:15]
	v_add_f64 v[88:89], v[88:89], v[102:103]
	v_mul_f64 v[102:103], v[182:183], s[14:15]
	v_fma_f64 v[80:81], v[84:85], s[24:25], -v[198:199]
	v_add_f64 v[38:39], v[164:165], v[38:39]
	v_fma_f64 v[82:83], v[184:185], s[24:25], v[90:91]
	v_add_f64 v[66:67], v[162:163], v[74:75]
	v_mul_f64 v[212:213], v[182:183], s[30:31]
	v_fma_f64 v[218:219], v[184:185], s[18:19], -v[204:205]
	v_fma_f64 v[200:201], v[56:57], s[24:25], -v[210:211]
	v_add_f64 v[156:157], v[196:197], v[156:157]
	v_fma_f64 v[204:205], v[184:185], s[18:19], v[204:205]
	v_add_f64 v[190:191], v[206:207], v[190:191]
	v_fma_f64 v[72:73], v[184:185], s[24:25], -v[90:91]
	v_add_f64 v[36:37], v[78:79], v[36:37]
	v_add_f64 v[54:55], v[64:65], v[54:55]
	v_mul_f64 v[92:93], v[92:93], s[20:21]
	v_fma_f64 v[160:161], v[56:57], s[16:17], v[100:101]
	v_mul_f64 v[94:95], v[186:187], s[20:21]
	v_fma_f64 v[56:57], v[56:57], s[16:17], -v[100:101]
	v_add_f64 v[38:39], v[80:81], v[38:39]
	v_fma_f64 v[74:75], v[188:189], s[16:17], v[102:103]
	v_add_f64 v[58:59], v[82:83], v[66:67]
	v_mul_f64 v[206:207], v[186:187], s[26:27]
	v_fma_f64 v[196:197], v[52:53], s[22:23], -v[214:215]
	v_add_f64 v[156:157], v[200:201], v[156:157]
	v_fma_f64 v[200:201], v[188:189], s[24:25], v[212:213]
	v_add_f64 v[112:113], v[204:205], v[112:113]
	v_fma_f64 v[216:217], v[188:189], s[24:25], -v[212:213]
	v_add_f64 v[190:191], v[218:219], v[190:191]
	v_fma_f64 v[64:65], v[188:189], s[16:17], -v[102:103]
	v_add_f64 v[36:37], v[72:73], v[36:37]
	v_add_f64 v[50:51], v[54:55], v[76:77]
	v_fma_f64 v[66:67], v[52:53], s[18:19], -v[92:93]
	v_add_f64 v[38:39], v[56:57], v[38:39]
	v_fma_f64 v[56:57], v[158:159], s[18:19], v[94:95]
	v_add_f64 v[54:55], v[74:75], v[58:59]
	v_add_f64 v[86:87], v[196:197], v[156:157]
	v_fma_f64 v[156:157], v[158:159], s[22:23], v[206:207]
	v_add_f64 v[112:113], v[200:201], v[112:113]
	v_fma_f64 v[208:209], v[158:159], s[16:17], v[208:209]
	v_fma_f64 v[193:194], v[158:159], s[22:23], -v[206:207]
	v_add_f64 v[190:191], v[216:217], v[190:191]
	v_fma_f64 v[52:53], v[52:53], s[18:19], v[92:93]
	v_add_f64 v[58:59], v[160:161], v[88:89]
	v_fma_f64 v[72:73], v[158:159], s[18:19], -v[94:95]
	v_add_f64 v[64:65], v[64:65], v[36:37]
	v_add_f64 v[42:43], v[50:51], v[42:43]
	;; [unrolled: 1-line block ×6, first 2 shown]
	s_waitcnt vmcnt(1)
	v_mul_u32_u24_e32 v40, 0xa5, v40
	s_waitcnt vmcnt(0)
	v_add_lshl_u32 v40, v40, v41, 4
	v_add_f64 v[112:113], v[193:194], v[190:191]
	v_add_f64 v[52:53], v[52:53], v[58:59]
	;; [unrolled: 1-line block ×3, first 2 shown]
	ds_write_b128 v40, v[42:45]
	ds_write_b128 v40, v[36:39] offset:240
	ds_write_b128 v40, v[84:87] offset:480
	;; [unrolled: 1-line block ×10, first 2 shown]
.LBB0_17:
	s_or_b64 exec, exec, s[2:3]
	s_waitcnt lgkmcnt(0)
	s_barrier
	ds_read_b128 v[36:39], v255 offset:7920
	ds_read_b128 v[40:43], v255
	ds_read_b128 v[44:47], v255 offset:2640
	ds_read_b128 v[48:51], v255 offset:15840
	;; [unrolled: 1-line block ×4, first 2 shown]
	s_waitcnt lgkmcnt(5)
	v_mul_f64 v[72:73], v[122:123], v[38:39]
	ds_read_b128 v[60:63], v255 offset:10560
	ds_read_b128 v[64:67], v255 offset:13200
	s_waitcnt lgkmcnt(4)
	v_mul_f64 v[76:77], v[118:119], v[50:51]
	v_mul_f64 v[74:75], v[122:123], v[36:37]
	;; [unrolled: 1-line block ×3, first 2 shown]
	s_waitcnt lgkmcnt(1)
	v_mul_f64 v[80:81], v[122:123], v[62:63]
	v_mul_f64 v[82:83], v[122:123], v[60:61]
	v_fma_f64 v[72:73], v[120:121], v[36:37], v[72:73]
	v_mul_f64 v[36:37], v[118:119], v[54:55]
	ds_read_b128 v[68:71], v255 offset:21120
	v_fma_f64 v[48:49], v[116:117], v[48:49], v[76:77]
	v_fma_f64 v[38:39], v[120:121], v[38:39], -v[74:75]
	v_fma_f64 v[50:51], v[116:117], v[50:51], -v[78:79]
	v_mul_f64 v[74:75], v[118:119], v[52:53]
	v_fma_f64 v[76:77], v[120:121], v[60:61], v[80:81]
	s_waitcnt lgkmcnt(1)
	v_mul_f64 v[60:61], v[130:131], v[66:67]
	v_mul_f64 v[78:79], v[130:131], v[64:65]
	v_fma_f64 v[62:63], v[120:121], v[62:63], -v[82:83]
	v_add_f64 v[80:81], v[72:73], v[48:49]
	v_fma_f64 v[82:83], v[116:117], v[52:53], v[36:37]
	s_waitcnt lgkmcnt(0)
	v_mul_f64 v[36:37], v[126:127], v[70:71]
	v_fma_f64 v[54:55], v[116:117], v[54:55], -v[74:75]
	v_mul_f64 v[52:53], v[126:127], v[68:69]
	v_add_f64 v[74:75], v[40:41], v[72:73]
	v_fma_f64 v[64:65], v[128:129], v[64:65], v[60:61]
	v_fma_f64 v[66:67], v[128:129], v[66:67], -v[78:79]
	v_fma_f64 v[60:61], v[80:81], -0.5, v[40:41]
	v_add_f64 v[80:81], v[38:39], v[50:51]
	v_add_f64 v[78:79], v[38:39], -v[50:51]
	v_fma_f64 v[68:69], v[124:125], v[68:69], v[36:37]
	v_fma_f64 v[70:71], v[124:125], v[70:71], -v[52:53]
	v_add_f64 v[36:37], v[74:75], v[48:49]
	v_add_f64 v[52:53], v[76:77], v[82:83]
	;; [unrolled: 1-line block ×3, first 2 shown]
	v_add_f64 v[72:73], v[72:73], -v[48:49]
	v_fma_f64 v[74:75], v[80:81], -0.5, v[42:43]
	s_mov_b32 s0, 0xe8584caa
	s_mov_b32 s1, 0xbfebb67a
	;; [unrolled: 1-line block ×4, first 2 shown]
	v_fma_f64 v[40:41], v[78:79], s[0:1], v[60:61]
	v_fma_f64 v[48:49], v[78:79], s[2:3], v[60:61]
	v_add_f64 v[78:79], v[62:63], v[54:55]
	v_add_f64 v[80:81], v[44:45], v[76:77]
	v_fma_f64 v[84:85], v[52:53], -0.5, v[44:45]
	v_add_f64 v[86:87], v[62:63], -v[54:55]
	v_add_f64 v[38:39], v[38:39], v[50:51]
	v_fma_f64 v[42:43], v[72:73], s[2:3], v[74:75]
	v_fma_f64 v[50:51], v[72:73], s[0:1], v[74:75]
	v_add_f64 v[72:73], v[64:65], v[68:69]
	v_add_f64 v[74:75], v[66:67], v[70:71]
	;; [unrolled: 1-line block ×3, first 2 shown]
	v_fma_f64 v[78:79], v[78:79], -0.5, v[46:47]
	v_add_f64 v[76:77], v[76:77], -v[82:83]
	v_add_f64 v[44:45], v[80:81], v[82:83]
	v_add_f64 v[80:81], v[56:57], v[64:65]
	v_add_f64 v[82:83], v[66:67], -v[70:71]
	v_add_f64 v[66:67], v[58:59], v[66:67]
	v_fma_f64 v[52:53], v[86:87], s[0:1], v[84:85]
	v_fma_f64 v[60:61], v[86:87], s[2:3], v[84:85]
	v_fma_f64 v[72:73], v[72:73], -0.5, v[56:57]
	v_fma_f64 v[74:75], v[74:75], -0.5, v[58:59]
	v_add_f64 v[84:85], v[64:65], -v[68:69]
	v_add_f64 v[46:47], v[62:63], v[54:55]
	v_fma_f64 v[54:55], v[76:77], s[2:3], v[78:79]
	v_fma_f64 v[62:63], v[76:77], s[0:1], v[78:79]
	v_add_f64 v[56:57], v[80:81], v[68:69]
	v_add_f64 v[58:59], v[66:67], v[70:71]
	v_fma_f64 v[64:65], v[82:83], s[0:1], v[72:73]
	v_fma_f64 v[68:69], v[82:83], s[2:3], v[72:73]
	;; [unrolled: 1-line block ×4, first 2 shown]
	s_barrier
	ds_write_b128 v255, v[36:39]
	ds_write_b128 v255, v[40:43] offset:2640
	ds_write_b128 v255, v[48:51] offset:5280
	;; [unrolled: 1-line block ×8, first 2 shown]
	s_waitcnt lgkmcnt(0)
	s_barrier
	ds_read_b128 v[36:39], v255 offset:7920
	buffer_load_dword v40, off, s[48:51], 0 ; 4-byte Folded Reload
	buffer_load_dword v41, off, s[48:51], 0 offset:4 ; 4-byte Folded Reload
	s_waitcnt lgkmcnt(0)
	v_mul_f64 v[74:75], v[138:139], v[38:39]
	v_mul_f64 v[76:77], v[138:139], v[36:37]
	v_fma_f64 v[36:37], v[136:137], v[36:37], v[74:75]
	v_fma_f64 v[38:39], v[136:137], v[38:39], -v[76:77]
	s_waitcnt vmcnt(1)
	v_mov_b32_e32 v88, v40
	s_waitcnt vmcnt(0)
	ds_read_b128 v[40:43], v255
	ds_read_b128 v[44:47], v255 offset:2640
	ds_read_b128 v[48:51], v255 offset:5280
	;; [unrolled: 1-line block ×7, first 2 shown]
	v_mad_u64_u32 v[72:73], s[6:7], s10, v88, 0
	s_waitcnt lgkmcnt(4)
	v_mul_f64 v[78:79], v[134:135], v[54:55]
	v_mul_f64 v[80:81], v[134:135], v[52:53]
	s_waitcnt lgkmcnt(2)
	v_mul_f64 v[74:75], v[146:147], v[62:63]
	v_mul_f64 v[76:77], v[146:147], v[60:61]
	;; [unrolled: 1-line block ×3, first 2 shown]
	v_fma_f64 v[52:53], v[132:133], v[52:53], v[78:79]
	v_mul_f64 v[78:79], v[142:143], v[56:57]
	v_fma_f64 v[54:55], v[132:133], v[54:55], -v[80:81]
	s_waitcnt lgkmcnt(1)
	v_mul_f64 v[80:81], v[154:155], v[66:67]
	v_fma_f64 v[74:75], v[144:145], v[60:61], v[74:75]
	v_mul_f64 v[60:61], v[154:155], v[64:65]
	v_fma_f64 v[62:63], v[144:145], v[62:63], -v[76:77]
	v_fma_f64 v[76:77], v[140:141], v[56:57], v[82:83]
	v_add_f64 v[56:57], v[36:37], v[52:53]
	v_fma_f64 v[58:59], v[140:141], v[58:59], -v[78:79]
	s_waitcnt lgkmcnt(0)
	v_mul_f64 v[78:79], v[150:151], v[70:71]
	v_fma_f64 v[64:65], v[152:153], v[64:65], v[80:81]
	v_mul_f64 v[80:81], v[150:151], v[68:69]
	v_fma_f64 v[66:67], v[152:153], v[66:67], -v[60:61]
	v_add_f64 v[60:61], v[38:39], v[54:55]
	v_add_f64 v[82:83], v[40:41], v[36:37]
	v_fma_f64 v[56:57], v[56:57], -0.5, v[40:41]
	v_add_f64 v[84:85], v[38:39], -v[54:55]
	v_fma_f64 v[68:69], v[148:149], v[68:69], v[78:79]
	v_add_f64 v[78:79], v[74:75], v[76:77]
	v_fma_f64 v[70:71], v[148:149], v[70:71], -v[80:81]
	v_add_f64 v[38:39], v[42:43], v[38:39]
	v_fma_f64 v[60:61], v[60:61], -0.5, v[42:43]
	v_add_f64 v[80:81], v[36:37], -v[52:53]
	v_add_f64 v[86:87], v[62:63], -v[58:59]
	v_add_f64 v[36:37], v[82:83], v[52:53]
	v_fma_f64 v[40:41], v[84:85], s[0:1], v[56:57]
	v_fma_f64 v[78:79], v[78:79], -0.5, v[44:45]
	v_add_f64 v[82:83], v[44:45], v[74:75]
	v_fma_f64 v[52:53], v[84:85], s[2:3], v[56:57]
	v_add_f64 v[84:85], v[62:63], v[58:59]
	v_add_f64 v[38:39], v[38:39], v[54:55]
	v_fma_f64 v[42:43], v[80:81], s[2:3], v[60:61]
	v_fma_f64 v[54:55], v[80:81], s[0:1], v[60:61]
	v_add_f64 v[80:81], v[64:65], v[68:69]
	v_fma_f64 v[56:57], v[86:87], s[0:1], v[78:79]
	v_fma_f64 v[60:61], v[86:87], s[2:3], v[78:79]
	v_add_f64 v[78:79], v[66:67], v[70:71]
	v_add_f64 v[62:63], v[46:47], v[62:63]
	v_add_f64 v[44:45], v[82:83], v[76:77]
	v_fma_f64 v[82:83], v[84:85], -0.5, v[46:47]
	v_add_f64 v[74:75], v[74:75], -v[76:77]
	v_add_f64 v[76:77], v[48:49], v[64:65]
	v_add_f64 v[84:85], v[66:67], -v[70:71]
	v_add_f64 v[66:67], v[50:51], v[66:67]
	v_fma_f64 v[80:81], v[80:81], -0.5, v[48:49]
	v_fma_f64 v[78:79], v[78:79], -0.5, v[50:51]
	v_add_f64 v[86:87], v[64:65], -v[68:69]
	v_add_f64 v[46:47], v[62:63], v[58:59]
	v_fma_f64 v[58:59], v[74:75], s[2:3], v[82:83]
	v_fma_f64 v[62:63], v[74:75], s[0:1], v[82:83]
	v_add_f64 v[48:49], v[76:77], v[68:69]
	v_add_f64 v[50:51], v[66:67], v[70:71]
	v_fma_f64 v[64:65], v[84:85], s[0:1], v[80:81]
	v_fma_f64 v[68:69], v[84:85], s[2:3], v[80:81]
	;; [unrolled: 1-line block ×4, first 2 shown]
	ds_write_b128 v255, v[36:39]
	ds_write_b128 v255, v[40:43] offset:7920
	ds_write_b128 v255, v[52:55] offset:15840
	;; [unrolled: 1-line block ×8, first 2 shown]
	s_waitcnt lgkmcnt(0)
	s_barrier
	ds_read_b128 v[36:39], v255
	ds_read_b128 v[40:43], v255 offset:2640
	v_mov_b32_e32 v44, v73
	v_mov_b32_e32 v54, s5
	s_mul_i32 s5, s8, 0x1ef0
	s_waitcnt lgkmcnt(1)
	v_mul_f64 v[45:46], v[30:31], v[38:39]
	v_mul_f64 v[30:31], v[30:31], v[36:37]
	v_fma_f64 v[36:37], v[28:29], v[36:37], v[45:46]
	v_mad_u64_u32 v[47:48], s[0:1], s11, v88, v[44:45]
	v_mad_u64_u32 v[48:49], s[0:1], s8, v192, 0
	s_mov_b32 s0, 0xef473283
	v_fma_f64 v[30:31], v[28:29], v[38:39], -v[30:31]
	s_mov_b32 s1, 0x3f4610e4
	v_mov_b32_e32 v28, v49
	v_mad_u64_u32 v[44:45], s[2:3], s9, v192, v[28:29]
	v_mul_f64 v[28:29], v[36:37], s[0:1]
	ds_read_b128 v[36:39], v255 offset:7920
	v_mov_b32_e32 v73, v47
	v_mov_b32_e32 v49, v44
	ds_read_b128 v[44:47], v255 offset:5280
	v_mul_f64 v[30:31], v[30:31], s[0:1]
	s_waitcnt lgkmcnt(1)
	v_mul_f64 v[52:53], v[34:35], v[38:39]
	v_mul_f64 v[34:35], v[34:35], v[36:37]
	v_lshlrev_b64 v[50:51], 4, v[72:73]
	v_lshlrev_b64 v[48:49], 4, v[48:49]
	v_add_co_u32_e32 v55, vcc, s4, v50
	v_addc_co_u32_e32 v54, vcc, v54, v51, vcc
	v_fma_f64 v[36:37], v[32:33], v[36:37], v[52:53]
	v_fma_f64 v[50:51], v[32:33], v[38:39], -v[34:35]
	ds_read_b128 v[32:35], v255 offset:15840
	v_add_co_u32_e32 v48, vcc, v55, v48
	v_addc_co_u32_e32 v49, vcc, v54, v49, vcc
	global_store_dwordx4 v[48:49], v[28:31], off
	s_mul_i32 s2, s9, 0x1ef0
	v_mul_f64 v[28:29], v[36:37], s[0:1]
	ds_read_b128 v[36:39], v255 offset:18480
	s_waitcnt lgkmcnt(1)
	v_mul_f64 v[52:53], v[2:3], v[34:35]
	v_mul_f64 v[2:3], v[2:3], v[32:33]
	;; [unrolled: 1-line block ×3, first 2 shown]
	s_mul_hi_u32 s3, s8, 0x1ef0
	s_add_i32 s4, s3, s2
	v_mov_b32_e32 v50, s4
	v_add_co_u32_e32 v48, vcc, s5, v48
	v_fma_f64 v[32:33], v[0:1], v[32:33], v[52:53]
	v_fma_f64 v[2:3], v[0:1], v[34:35], -v[2:3]
	v_mul_f64 v[34:35], v[6:7], v[42:43]
	v_mul_f64 v[6:7], v[6:7], v[40:41]
	v_addc_co_u32_e32 v49, vcc, v49, v50, vcc
	global_store_dwordx4 v[48:49], v[28:31], off
	v_mul_f64 v[0:1], v[32:33], s[0:1]
	v_mov_b32_e32 v28, s4
	v_fma_f64 v[32:33], v[4:5], v[40:41], v[34:35]
	v_fma_f64 v[34:35], v[4:5], v[42:43], -v[6:7]
	ds_read_b128 v[4:7], v255 offset:10560
	v_add_co_u32_e32 v40, vcc, s5, v48
	v_mul_f64 v[2:3], v[2:3], s[0:1]
	v_addc_co_u32_e32 v41, vcc, v49, v28, vcc
	ds_read_b128 v[28:31], v255 offset:13200
	s_waitcnt lgkmcnt(1)
	v_mul_f64 v[42:43], v[10:11], v[6:7]
	v_mul_f64 v[10:11], v[10:11], v[4:5]
	global_store_dwordx4 v[40:41], v[0:3], off
	s_nop 0
	v_mul_f64 v[0:1], v[32:33], s[0:1]
	v_mul_f64 v[2:3], v[34:35], s[0:1]
	v_mov_b32_e32 v34, 0xffffcc70
	v_fma_f64 v[4:5], v[8:9], v[4:5], v[42:43]
	v_fma_f64 v[6:7], v[8:9], v[6:7], -v[10:11]
	v_mul_f64 v[8:9], v[22:23], v[38:39]
	v_mul_f64 v[10:11], v[22:23], v[36:37]
	v_mad_u64_u32 v[32:33], s[2:3], s8, v34, v[40:41]
	s_mul_i32 s2, s9, 0xffffcc70
	s_sub_i32 s6, s2, s8
	v_add_u32_e32 v33, s6, v33
	global_store_dwordx4 v[32:33], v[0:3], off
	v_mov_b32_e32 v22, s4
	v_mul_f64 v[0:1], v[4:5], s[0:1]
	v_mul_f64 v[2:3], v[6:7], s[0:1]
	v_fma_f64 v[4:5], v[20:21], v[36:37], v[8:9]
	v_fma_f64 v[6:7], v[20:21], v[38:39], -v[10:11]
	v_mul_f64 v[8:9], v[18:19], v[46:47]
	v_mul_f64 v[10:11], v[18:19], v[44:45]
	v_add_co_u32_e32 v18, vcc, s5, v32
	v_addc_co_u32_e32 v19, vcc, v33, v22, vcc
	global_store_dwordx4 v[18:19], v[0:3], off
	v_mov_b32_e32 v20, s4
	v_mul_f64 v[0:1], v[4:5], s[0:1]
	v_mul_f64 v[2:3], v[6:7], s[0:1]
	ds_read_b128 v[4:7], v255 offset:21120
	v_fma_f64 v[8:9], v[16:17], v[44:45], v[8:9]
	v_fma_f64 v[10:11], v[16:17], v[46:47], -v[10:11]
	s_waitcnt lgkmcnt(1)
	v_mul_f64 v[16:17], v[14:15], v[30:31]
	v_mul_f64 v[14:15], v[14:15], v[28:29]
	v_add_co_u32_e32 v18, vcc, s5, v18
	v_addc_co_u32_e32 v19, vcc, v19, v20, vcc
	s_waitcnt lgkmcnt(0)
	v_mul_f64 v[20:21], v[26:27], v[6:7]
	v_mul_f64 v[22:23], v[26:27], v[4:5]
	v_fma_f64 v[16:17], v[12:13], v[28:29], v[16:17]
	v_fma_f64 v[12:13], v[12:13], v[30:31], -v[14:15]
	v_mul_f64 v[8:9], v[8:9], s[0:1]
	v_mul_f64 v[10:11], v[10:11], s[0:1]
	global_store_dwordx4 v[18:19], v[0:3], off
	v_mad_u64_u32 v[14:15], s[2:3], s8, v34, v[18:19]
	v_fma_f64 v[4:5], v[24:25], v[4:5], v[20:21]
	v_fma_f64 v[6:7], v[24:25], v[6:7], -v[22:23]
	v_mul_f64 v[0:1], v[16:17], s[0:1]
	v_mul_f64 v[2:3], v[12:13], s[0:1]
	v_add_u32_e32 v15, s6, v15
	global_store_dwordx4 v[14:15], v[8:11], off
	v_mul_f64 v[4:5], v[4:5], s[0:1]
	v_mul_f64 v[6:7], v[6:7], s[0:1]
	v_mov_b32_e32 v9, s4
	v_add_co_u32_e32 v8, vcc, s5, v14
	v_addc_co_u32_e32 v9, vcc, v15, v9, vcc
	global_store_dwordx4 v[8:9], v[0:3], off
	s_nop 0
	v_mov_b32_e32 v1, s4
	v_add_co_u32_e32 v0, vcc, s5, v8
	v_addc_co_u32_e32 v1, vcc, v9, v1, vcc
	global_store_dwordx4 v[0:1], v[4:7], off
.LBB0_18:
	s_endpgm
	.section	.rodata,"a",@progbits
	.p2align	6, 0x0
	.amdhsa_kernel bluestein_single_fwd_len1485_dim1_dp_op_CI_CI
		.amdhsa_group_segment_fixed_size 23760
		.amdhsa_private_segment_fixed_size 316
		.amdhsa_kernarg_size 104
		.amdhsa_user_sgpr_count 6
		.amdhsa_user_sgpr_private_segment_buffer 1
		.amdhsa_user_sgpr_dispatch_ptr 0
		.amdhsa_user_sgpr_queue_ptr 0
		.amdhsa_user_sgpr_kernarg_segment_ptr 1
		.amdhsa_user_sgpr_dispatch_id 0
		.amdhsa_user_sgpr_flat_scratch_init 0
		.amdhsa_user_sgpr_private_segment_size 0
		.amdhsa_uses_dynamic_stack 0
		.amdhsa_system_sgpr_private_segment_wavefront_offset 1
		.amdhsa_system_sgpr_workgroup_id_x 1
		.amdhsa_system_sgpr_workgroup_id_y 0
		.amdhsa_system_sgpr_workgroup_id_z 0
		.amdhsa_system_sgpr_workgroup_info 0
		.amdhsa_system_vgpr_workitem_id 0
		.amdhsa_next_free_vgpr 256
		.amdhsa_next_free_sgpr 52
		.amdhsa_reserve_vcc 1
		.amdhsa_reserve_flat_scratch 0
		.amdhsa_float_round_mode_32 0
		.amdhsa_float_round_mode_16_64 0
		.amdhsa_float_denorm_mode_32 3
		.amdhsa_float_denorm_mode_16_64 3
		.amdhsa_dx10_clamp 1
		.amdhsa_ieee_mode 1
		.amdhsa_fp16_overflow 0
		.amdhsa_exception_fp_ieee_invalid_op 0
		.amdhsa_exception_fp_denorm_src 0
		.amdhsa_exception_fp_ieee_div_zero 0
		.amdhsa_exception_fp_ieee_overflow 0
		.amdhsa_exception_fp_ieee_underflow 0
		.amdhsa_exception_fp_ieee_inexact 0
		.amdhsa_exception_int_div_zero 0
	.end_amdhsa_kernel
	.text
.Lfunc_end0:
	.size	bluestein_single_fwd_len1485_dim1_dp_op_CI_CI, .Lfunc_end0-bluestein_single_fwd_len1485_dim1_dp_op_CI_CI
                                        ; -- End function
	.section	.AMDGPU.csdata,"",@progbits
; Kernel info:
; codeLenInByte = 17936
; NumSgprs: 56
; NumVgprs: 256
; ScratchSize: 316
; MemoryBound: 0
; FloatMode: 240
; IeeeMode: 1
; LDSByteSize: 23760 bytes/workgroup (compile time only)
; SGPRBlocks: 6
; VGPRBlocks: 63
; NumSGPRsForWavesPerEU: 56
; NumVGPRsForWavesPerEU: 256
; Occupancy: 1
; WaveLimiterHint : 1
; COMPUTE_PGM_RSRC2:SCRATCH_EN: 1
; COMPUTE_PGM_RSRC2:USER_SGPR: 6
; COMPUTE_PGM_RSRC2:TRAP_HANDLER: 0
; COMPUTE_PGM_RSRC2:TGID_X_EN: 1
; COMPUTE_PGM_RSRC2:TGID_Y_EN: 0
; COMPUTE_PGM_RSRC2:TGID_Z_EN: 0
; COMPUTE_PGM_RSRC2:TIDIG_COMP_CNT: 0
	.type	__hip_cuid_a0ad6d0e78403134,@object ; @__hip_cuid_a0ad6d0e78403134
	.section	.bss,"aw",@nobits
	.globl	__hip_cuid_a0ad6d0e78403134
__hip_cuid_a0ad6d0e78403134:
	.byte	0                               ; 0x0
	.size	__hip_cuid_a0ad6d0e78403134, 1

	.ident	"AMD clang version 19.0.0git (https://github.com/RadeonOpenCompute/llvm-project roc-6.4.0 25133 c7fe45cf4b819c5991fe208aaa96edf142730f1d)"
	.section	".note.GNU-stack","",@progbits
	.addrsig
	.addrsig_sym __hip_cuid_a0ad6d0e78403134
	.amdgpu_metadata
---
amdhsa.kernels:
  - .args:
      - .actual_access:  read_only
        .address_space:  global
        .offset:         0
        .size:           8
        .value_kind:     global_buffer
      - .actual_access:  read_only
        .address_space:  global
        .offset:         8
        .size:           8
        .value_kind:     global_buffer
      - .actual_access:  read_only
        .address_space:  global
        .offset:         16
        .size:           8
        .value_kind:     global_buffer
      - .actual_access:  read_only
        .address_space:  global
        .offset:         24
        .size:           8
        .value_kind:     global_buffer
      - .actual_access:  read_only
        .address_space:  global
        .offset:         32
        .size:           8
        .value_kind:     global_buffer
      - .offset:         40
        .size:           8
        .value_kind:     by_value
      - .address_space:  global
        .offset:         48
        .size:           8
        .value_kind:     global_buffer
      - .address_space:  global
        .offset:         56
        .size:           8
        .value_kind:     global_buffer
      - .address_space:  global
        .offset:         64
        .size:           8
        .value_kind:     global_buffer
      - .address_space:  global
        .offset:         72
        .size:           8
        .value_kind:     global_buffer
      - .offset:         80
        .size:           4
        .value_kind:     by_value
      - .address_space:  global
        .offset:         88
        .size:           8
        .value_kind:     global_buffer
      - .address_space:  global
        .offset:         96
        .size:           8
        .value_kind:     global_buffer
    .group_segment_fixed_size: 23760
    .kernarg_segment_align: 8
    .kernarg_segment_size: 104
    .language:       OpenCL C
    .language_version:
      - 2
      - 0
    .max_flat_workgroup_size: 165
    .name:           bluestein_single_fwd_len1485_dim1_dp_op_CI_CI
    .private_segment_fixed_size: 316
    .sgpr_count:     56
    .sgpr_spill_count: 0
    .symbol:         bluestein_single_fwd_len1485_dim1_dp_op_CI_CI.kd
    .uniform_work_group_size: 1
    .uses_dynamic_stack: false
    .vgpr_count:     256
    .vgpr_spill_count: 78
    .wavefront_size: 64
amdhsa.target:   amdgcn-amd-amdhsa--gfx906
amdhsa.version:
  - 1
  - 2
...

	.end_amdgpu_metadata
